;; amdgpu-corpus repo=ROCm/aiter kind=harvested arch=n/a opt=n/a

/root/src/amdgpu-assembly/repos/ROCm__aiter/hsa/gfx950/f4gemm/f4gemm_bf16_per1x32Fp4_BpreShuffle_32x384.co:	file format elf64-amdgpu

Disassembly of section .text:

0000000000002c00 <_ZN5aiter41f4gemm_bf16_per1x32Fp4_BpreShuffle_32x384E>:
	s_and_b32 s1, s1, 0xffff                                   // 000000002C00: 8601FF01 0000FFFF
	s_load_dwordx2 s[4:5], s[0:1], 0x0                         // 000000002C08: C0060100 00000000
	s_load_dwordx2 s[8:9], s[0:1], 0x10                        // 000000002C10: C0060200 00000010
	s_load_dwordx2 s[12:13], s[0:1], 0x20                      // 000000002C18: C0060300 00000020
	s_load_dwordx2 s[16:17], s[0:1], 0x30                      // 000000002C20: C0060400 00000030
	s_load_dword s41, s[0:1], 0x40                             // 000000002C28: C0020A40 00000040
	s_load_dword s42, s[0:1], 0x50                             // 000000002C30: C0020A80 00000050
	s_load_dword s36, s[0:1], 0x80                             // 000000002C38: C0020900 00000080
	s_load_dword s37, s[0:1], 0xa0                             // 000000002C40: C0020940 000000A0
	s_load_dword s38, s[0:1], 0xc0                             // 000000002C48: C0020980 000000C0
	s_load_dword s43, s[0:1], 0xe0                             // 000000002C50: C0020AC0 000000E0
	s_load_dword s44, s[0:1], 0xf0                             // 000000002C58: C0020B00 000000F0
	s_load_dword s45, s[0:1], 0x100                            // 000000002C60: C0020B40 00000100
	s_load_dwordx2 s[20:21], s[0:1], 0x110                     // 000000002C68: C0060500 00000110
	s_load_dwordx2 s[24:25], s[0:1], 0x120                     // 000000002C70: C0060600 00000120
	s_load_dword s39, s[0:1], 0x130                            // 000000002C78: C00209C0 00000130
	s_load_dword s40, s[0:1], 0x150                            // 000000002C80: C0020A00 00000150
	v_lshrrev_b32_e32 v1, 10, v0                               // 000000002C88: 2002008A
	v_lshrrev_b32_e32 v2, 10, v1                               // 000000002C8C: 2004028A
	v_and_b32_e32 v2, 0x3ff, v2                                // 000000002C90: 260404FF 000003FF
	v_and_b32_e32 v1, 0x3ff, v1                                // 000000002C98: 260202FF 000003FF
	v_and_b32_e32 v0, 0x3ff, v0                                // 000000002CA0: 260000FF 000003FF
	v_lshrrev_b32_e32 v3, 6, v0                                // 000000002CA8: 20060086
	v_and_b32_e32 v0, 63, v0                                   // 000000002CAC: 260000BF
	s_mov_b32 s47, s2                                          // 000000002CB0: BEAF0002
	s_mov_b32 s48, s3                                          // 000000002CB4: BEB00003
	v_readfirstlane_b32 s46, v3                                // 000000002CB8: 7E5C0503
	s_waitcnt lgkmcnt(0)                                       // 000000002CBC: BF8CC07F
	s_add_u32 s51, s44, 0x17f                                  // 000000002CC0: 8033FF2C 0000017F
	s_mov_b32 s63, 0x180                                       // 000000002CC8: BEBF00FF 00000180
	v_cvt_f32_u32_e32 v4, s63                                  // 000000002CD0: 7E080C3F
	s_sub_i32 s50, 0, s63                                      // 000000002CD4: 81B23F80
	v_rcp_iflag_f32_e32 v4, v4                                 // 000000002CD8: 7E084704
	s_nop 0                                                    // 000000002CDC: BF800000
	v_mul_f32_e32 v4, 0x4f7ffffe, v4                           // 000000002CE0: 0A0808FF 4F7FFFFE
	v_cvt_u32_f32_e32 v4, v4                                   // 000000002CE8: 7E080F04
	v_mul_lo_u32 v5, s50, v4                                   // 000000002CEC: D2850005 00020832
	v_mul_hi_u32 v5, v4, v5                                    // 000000002CF4: D2860005 00020B04
	v_add_u32_e32 v4, v4, v5                                   // 000000002CFC: 68080B04
	v_mul_hi_u32 v4, s51, v4                                   // 000000002D00: D2860004 00020833
	v_mul_lo_u32 v5, v4, s63                                   // 000000002D08: D2850005 00007F04
	v_sub_u32_e32 v7, s51, v5                                  // 000000002D10: 6A0E0A33
	v_add_u32_e32 v6, 1, v4                                    // 000000002D14: 680C0881
	v_cmp_le_u32_e32 vcc, s63, v7                              // 000000002D18: 7D960E3F
	v_subrev_u32_e32 v5, s63, v7                               // 000000002D1C: 6C0A0E3F
	s_nop 0                                                    // 000000002D20: BF800000
	v_cndmask_b32_e32 v4, v4, v6, vcc                          // 000000002D24: 00080D04
	v_cndmask_b32_e32 v7, v7, v5, vcc                          // 000000002D28: 000E0B07
	v_add_u32_e32 v5, 1, v4                                    // 000000002D2C: 680A0881
	v_cmp_le_u32_e32 vcc, s63, v7                              // 000000002D30: 7D960E3F
	s_nop 1                                                    // 000000002D34: BF800001
	v_cndmask_b32_e32 v7, v4, v5, vcc                          // 000000002D38: 000E0B04
	s_nop 3                                                    // 000000002D3C: BF800003
	v_readfirstlane_b32 s50, v7                                // 000000002D40: 7E640507
	s_nop 3                                                    // 000000002D44: BF800003
	s_mul_i32 s49, s50, s48                                    // 000000002D48: 92313032
	s_add_i32 s49, s49, s47                                    // 000000002D4C: 81312F31
	s_add_u32 s51, s43, 31                                     // 000000002D50: 80339F2B
	s_lshr_b32 s62, s51, 5                                     // 000000002D54: 8F3E8533
	s_lshl_b32 s62, s62, 5                                     // 000000002D58: 8E3E853E
	s_mov_b32 s47, 0                                           // 000000002D5C: BEAF0080

0000000000002d60 <label_0058>:
	s_cmp_lt_i32 s49, s62                                      // 000000002D60: BF043E31
	s_cbranch_scc1 label_005D                                  // 000000002D64: BF850003
	s_sub_i32 s49, s49, s62                                    // 000000002D68: 81B13E31
	s_add_i32 s47, s47, 32                                     // 000000002D6C: 812FA02F
	s_branch label_0058                                        // 000000002D70: BF82FFFB

0000000000002d74 <label_005D>:
	s_sub_i32 s50, s50, s47                                    // 000000002D74: 81B22F32
	s_cmp_lt_i32 s50, 32                                       // 000000002D78: BF04A032
	s_cbranch_scc1 label_0063                                  // 000000002D7C: BF850003
	s_lshr_b32 s48, s49, 5                                     // 000000002D80: 8F308531
	s_and_b32 s62, s49, 31                                     // 000000002D84: 863E9F31
	s_branch label_0083                                        // 000000002D88: BF820020

0000000000002d8c <label_0063>:
	v_cvt_f32_u32_e32 v4, s50                                  // 000000002D8C: 7E080C32
	s_sub_i32 s48, 0, s50                                      // 000000002D90: 81B03280
	v_rcp_iflag_f32_e32 v4, v4                                 // 000000002D94: 7E084704
	s_nop 0                                                    // 000000002D98: BF800000
	v_mul_f32_e32 v4, 0x4f7ffffe, v4                           // 000000002D9C: 0A0808FF 4F7FFFFE
	v_cvt_u32_f32_e32 v4, v4                                   // 000000002DA4: 7E080F04
	v_mul_lo_u32 v5, s48, v4                                   // 000000002DA8: D2850005 00020830
	v_mul_hi_u32 v5, v4, v5                                    // 000000002DB0: D2860005 00020B04
	v_add_u32_e32 v4, v4, v5                                   // 000000002DB8: 68080B04
	v_mul_hi_u32 v4, s49, v4                                   // 000000002DBC: D2860004 00020831
	v_mul_lo_u32 v5, v4, s50                                   // 000000002DC4: D2850005 00006504
	v_sub_u32_e32 v7, s49, v5                                  // 000000002DCC: 6A0E0A31
	v_add_u32_e32 v6, 1, v4                                    // 000000002DD0: 680C0881
	v_cmp_le_u32_e32 vcc, s50, v7                              // 000000002DD4: 7D960E32
	v_subrev_u32_e32 v5, s50, v7                               // 000000002DD8: 6C0A0E32
	s_nop 0                                                    // 000000002DDC: BF800000
	v_cndmask_b32_e32 v4, v4, v6, vcc                          // 000000002DE0: 00080D04
	v_cndmask_b32_e32 v7, v7, v5, vcc                          // 000000002DE4: 000E0B07
	v_add_u32_e32 v5, 1, v4                                    // 000000002DE8: 680A0881
	v_cmp_le_u32_e32 vcc, s50, v7                              // 000000002DEC: 7D960E32
	s_nop 1                                                    // 000000002DF0: BF800001
	v_cndmask_b32_e32 v7, v4, v5, vcc                          // 000000002DF4: 000E0B04
	s_nop 3                                                    // 000000002DF8: BF800003
	v_readfirstlane_b32 s48, v7                                // 000000002DFC: 7E600507
	s_nop 3                                                    // 000000002E00: BF800003
	s_mul_i32 s62, s50, s48                                    // 000000002E04: 923E3032
	s_sub_i32 s62, s49, s62                                    // 000000002E08: 81BE3E31

0000000000002e0c <label_0083>:
	s_add_i32 s47, s62, s47                                    // 000000002E0C: 812F2F3E
	s_lshr_b32 s37, s37, 1                                     // 000000002E10: 8F258125
	s_mul_i32 s62, s48, 32                                     // 000000002E14: 923EA030
	s_mul_hi_u32 s63, s37, s62                                 // 000000002E18: 963F3E25
	s_add_u32 s13, s13, s63                                    // 000000002E1C: 800D3F0D
	s_mul_i32 s63, s37, s62                                    // 000000002E20: 923F3E25
	s_add_u32 s12, s12, s63                                    // 000000002E24: 800C3F0C
	s_addc_u32 s13, s13, 0                                     // 000000002E28: 820D800D
	s_sub_i32 s63, s43, s62                                    // 000000002E2C: 81BF3E2B
	s_cmp_lt_u32 s63, 32                                       // 000000002E30: BF0AA03F
	s_cselect_b32 s62, s63, 32                                 // 000000002E34: 853EA03F
	s_mul_i32 s14, s37, s62                                    // 000000002E38: 920E3E25
	s_mov_b32 s15, 0x20000                                     // 000000002E3C: BE8F00FF 00020000
	v_lshrrev_b32_e32 v4, 3, v0                                // 000000002E44: 20080083
	v_lshrrev_b32_e32 v5, 2, v4                                // 000000002E48: 200A0882
	v_lshlrev_b32_e32 v5, 4, v5                                // 000000002E4C: 240A0A84
	v_and_b32_e32 v4, 3, v4                                    // 000000002E50: 26080883
	v_lshrrev_b32_e32 v6, 1, v4                                // 000000002E54: 200C0881
	v_lshlrev_b32_e32 v6, 2, v6                                // 000000002E58: 240C0C82
	v_add_u32_e32 v5, v5, v6                                   // 000000002E5C: 680A0D05
	v_and_b32_e32 v4, 1, v4                                    // 000000002E60: 26080881
	v_add_u32_e32 v5, v5, v4                                   // 000000002E64: 680A0905
	v_mul_lo_u32 v178, s37, v5                                 // 000000002E68: D28500B2 00020A25
	v_and_b32_e32 v4, 7, v0                                    // 000000002E70: 26080087
	v_lshlrev_b32_e32 v4, 4, v4                                // 000000002E74: 24080884
	v_add_u32_e32 v178, v4, v178                               // 000000002E78: 69656504
	s_lshr_b32 s62, s46, 1                                     // 000000002E7C: 8F3E812E
	s_mul_i32 s62, s62, 8                                      // 000000002E80: 923E883E
	s_and_b32 s63, s46, 1                                      // 000000002E84: 863F812E
	s_mul_i32 s63, s63, 2                                      // 000000002E88: 923F823F
	s_add_u32 s62, s62, s63                                    // 000000002E8C: 803E3F3E
	s_mul_i32 s62, s37, s62                                    // 000000002E90: 923E3E25
	v_add_u32_e32 v178, s62, v178                              // 000000002E94: 6965643E
	s_mul_i32 s64, 0x420, s46                                  // 000000002E98: 92402EFF 00000420
	s_add_u32 s64, 0x1000, s64                                 // 000000002EA0: 804040FF 00001000
	v_and_b32_e32 v4, 15, v0                                   // 000000002EA8: 2608008F
	v_lshrrev_b32_e32 v5, 3, v4                                // 000000002EAC: 200A0883
	v_mul_i32_i24_e32 v5, 2, v5                                // 000000002EB0: 0C0A0A82
	v_and_b32_e32 v4, 3, v0                                    // 000000002EB4: 26080083
	v_lshrrev_b32_e32 v6, 1, v4                                // 000000002EB8: 200C0881
	v_add_u32_e32 v4, v5, v6                                   // 000000002EBC: 68080D05
	v_mul_i32_i24_e32 v179, 0x420, v4                          // 000000002EC0: 0D6608FF 00000420
	v_and_b32_e32 v4, 7, v0                                    // 000000002EC8: 26080087
	v_lshrrev_b32_e32 v5, 2, v4                                // 000000002ECC: 200A0882
	v_mul_i32_i24_e32 v5, 0x100, v5                            // 000000002ED0: 0C0A0AFF 00000100
	v_add_u32_e32 v179, v5, v179                               // 000000002ED8: 69676705
	v_and_b32_e32 v4, 1, v0                                    // 000000002EDC: 26080081
	v_mul_i32_i24_e32 v6, 0x80, v4                             // 000000002EE0: 0C0C08FF 00000080
	v_add_u32_e32 v179, v6, v179                               // 000000002EE8: 69676706
	v_lshrrev_b32_e32 v4, 4, v0                                // 000000002EEC: 20080084
	v_mul_i32_i24_e32 v4, 16, v4                               // 000000002EF0: 0C080890
	v_add_u32_e32 v179, v4, v179                               // 000000002EF4: 69676704
	v_add_u32_e32 v179, 0x1000, v179                           // 000000002EF8: 696766FF 00001000
	v_add_u32_e32 v180, 0x1080, v179                           // 000000002F00: 696966FF 00001080
	v_add_u32_e32 v181, 0x1080, v180                           // 000000002F08: 696B68FF 00001080
	v_add_u32_e32 v182, 0x1080, v181                           // 000000002F10: 696D6AFF 00001080
	s_mul_i32 s62, s48, 32                                     // 000000002F18: 923EA030
	s_mul_hi_u32 s63, s39, s62                                 // 000000002F1C: 963F3E27
	s_add_u32 s21, s21, s63                                    // 000000002F20: 80153F15
	s_mul_i32 s63, s39, s62                                    // 000000002F24: 923F3E27
	s_add_u32 s20, s20, s63                                    // 000000002F28: 80143F14
	s_addc_u32 s21, s21, 0                                     // 000000002F2C: 82158015
	s_add_u32 s63, s43, 31                                     // 000000002F30: 803F9F2B
	s_lshr_b32 s63, s63, 5                                     // 000000002F34: 8F3F853F
	s_lshl_b32 s63, s63, 5                                     // 000000002F38: 8E3F853F
	s_sub_i32 s63, s63, s62                                    // 000000002F3C: 81BF3E3F
	s_cmp_lt_u32 s63, 32                                       // 000000002F40: BF0AA03F
	s_cselect_b32 s62, s63, 32                                 // 000000002F44: 853EA03F
	s_mul_i32 s22, s39, s62                                    // 000000002F48: 92163E27
	s_mov_b32 s23, 0x20000                                     // 000000002F4C: BE9700FF 00020000
	v_lshlrev_b32_e32 v183, 2, v0                              // 000000002F54: 256E0082
	s_mul_i32 s63, s46, 32                                     // 000000002F58: 923FA02E
	s_mul_i32 s63, s63, s39                                    // 000000002F5C: 923F273F
	v_add_u32_e32 v183, s63, v183                              // 000000002F60: 696F6E3F
	s_mul_i32 s65, s46, 0x100                                  // 000000002F64: 9241FF2E 00000100
	s_add_i32 s65, s65, 0                                      // 000000002F6C: 81418041
	v_lshlrev_b32_e32 v184, 2, v0                              // 000000002F70: 25700082
	v_add_u32_e32 v184, 0, v184                                // 000000002F74: 69717080
	s_lshr_b32 s38, s38, 1                                     // 000000002F78: 8F268126
	s_mul_i32 s62, s47, 0x180                                  // 000000002F7C: 923EFF2F 00000180
	s_mul_hi_u32 s63, s38, s62                                 // 000000002F84: 963F3E26
	s_add_u32 s17, s17, s63                                    // 000000002F88: 80113F11
	s_mul_i32 s63, s38, s62                                    // 000000002F8C: 923F3E26
	s_add_u32 s16, s16, s63                                    // 000000002F90: 80103F10
	s_addc_u32 s17, s17, 0                                     // 000000002F94: 82118011
	s_sub_i32 s63, s44, s62                                    // 000000002F98: 81BF3E2C
	s_cmp_lt_u32 s63, 0x180                                    // 000000002F9C: BF0AFF3F 00000180
	s_cselect_b32 s62, s63, 0x180                              // 000000002FA4: 853EFF3F 00000180
	s_mul_i32 s18, s38, s62                                    // 000000002FAC: 92123E26
	s_mov_b32 s19, 0x20000                                     // 000000002FB0: BE9300FF 00020000
	v_lshlrev_b32_e32 v185, 4, v0                              // 000000002FB8: 25720084
	s_mul_i32 s63, s46, 0x60                                   // 000000002FBC: 923FFF2E 00000060
	s_mul_i32 s62, s63, s38                                    // 000000002FC4: 923E263F
	v_add_u32_e32 v185, s62, v185                              // 000000002FC8: 6973723E
	s_mul_i32 s62, 16, s38                                     // 000000002FCC: 923E2690
	v_add_u32_e32 v186, s62, v185                              // 000000002FD0: 6975723E
	v_add_u32_e32 v187, s62, v186                              // 000000002FD4: 6977743E
	v_add_u32_e32 v188, s62, v187                              // 000000002FD8: 6979763E
	v_add_u32_e32 v189, s62, v188                              // 000000002FDC: 697B783E
	v_add_u32_e32 v190, s62, v189                              // 000000002FE0: 697D7A3E
	s_mul_i32 s62, s47, 0x180                                  // 000000002FE4: 923EFF2F 00000180
	s_mul_hi_u32 s63, s40, s62                                 // 000000002FEC: 963F3E28
	s_add_u32 s25, s25, s63                                    // 000000002FF0: 80193F19
	s_mul_i32 s63, s40, s62                                    // 000000002FF4: 923F3E28
	s_add_u32 s24, s24, s63                                    // 000000002FF8: 80183F18
	s_addc_u32 s25, s25, 0                                     // 000000002FFC: 82198019
	s_sub_i32 s63, s44, s62                                    // 000000003000: 81BF3E2C
	s_cmp_lt_u32 s63, 0x180                                    // 000000003004: BF0AFF3F 00000180
	s_cselect_b32 s62, s63, 0x180                              // 00000000300C: 853EFF3F 00000180
	s_mul_i32 s26, s40, s62                                    // 000000003014: 921A3E28
	s_mov_b32 s27, 0x20000                                     // 000000003018: BE9B00FF 00020000
	v_lshlrev_b32_e32 v191, 2, v0                              // 000000003020: 257E0082
	s_mul_i32 s63, s46, 0x60                                   // 000000003024: 923FFF2E 00000060
	s_mul_i32 s63, s63, s40                                    // 00000000302C: 923F283F
	v_add_u32_e32 v191, s63, v191                              // 000000003030: 697F7E3F
	s_mul_i32 s62, 32, s40                                     // 000000003034: 923E28A0
	v_add_u32_e32 v192, s62, v191                              // 000000003038: 69817E3E
	v_add_u32_e32 v193, s62, v192                              // 00000000303C: 6983803E
	s_mov_b32 s66, 0x80                                        // 000000003040: BEC200FF 00000080
	s_mov_b32 s67, 0x800                                       // 000000003048: BEC300FF 00000800
	s_mov_b32 s68, 0x100                                       // 000000003050: BEC400FF 00000100
	s_mov_b32 s69, 0x100                                       // 000000003058: BEC500FF 00000100
	s_mov_b32 s60, 0                                           // 000000003060: BEBC0080
	s_mov_b32 s61, s45                                         // 000000003064: BEBD002D
	s_add_u32 m0, 0, s65                                       // 000000003068: 807C4180
	buffer_load_dword v183, s[20:23], 0 offen lds              // 00000000306C: E0511000 800500B7
	v_accvgpr_write_b32 a0, 0                                  // 000000003074: D3D94000 18000080
	v_accvgpr_write_b32 a1, 0                                  // 00000000307C: D3D94001 18000080
	v_accvgpr_write_b32 a2, 0                                  // 000000003084: D3D94002 18000080
	v_accvgpr_write_b32 a3, 0                                  // 00000000308C: D3D94003 18000080
	v_accvgpr_write_b32 a4, 0                                  // 000000003094: D3D94004 18000080
	v_accvgpr_write_b32 a5, 0                                  // 00000000309C: D3D94005 18000080
	s_add_u32 m0, 0, s64                                       // 0000000030A4: 807C4080
	buffer_load_dwordx4 v178, s[12:15], 0 offen lds            // 0000000030A8: E05D1000 800300B2
	v_accvgpr_write_b32 a6, 0                                  // 0000000030B0: D3D94006 18000080
	v_accvgpr_write_b32 a7, 0                                  // 0000000030B8: D3D94007 18000080
	v_accvgpr_write_b32 a8, 0                                  // 0000000030C0: D3D94008 18000080
	v_accvgpr_write_b32 a9, 0                                  // 0000000030C8: D3D94009 18000080
	v_accvgpr_write_b32 a10, 0                                 // 0000000030D0: D3D9400A 18000080
	v_accvgpr_write_b32 a11, 0                                 // 0000000030D8: D3D9400B 18000080
	s_add_u32 s62, 0x100, s60                                  // 0000000030E0: 803E3CFF 00000100
	s_cmp_lt_u32 s62, s61                                      // 0000000030E8: BF0A3D3E
	s_cselect_b32 s66, s66, 0                                  // 0000000030EC: 85428042
	s_cselect_b32 s68, s68, 0                                  // 0000000030F0: 85448044
	s_add_u32 s12, s12, s66                                    // 0000000030F4: 800C420C
	s_addc_u32 s13, 0, s13                                     // 0000000030F8: 820D0D80
	s_sub_u32 s14, s14, s66                                    // 0000000030FC: 808E420E
	s_add_u32 s20, s20, s68                                    // 000000003100: 80144414
	s_addc_u32 s21, 0, s21                                     // 000000003104: 82151580
	s_sub_u32 s22, s22, s68                                    // 000000003108: 80964416
	s_add_u32 m0, 0x400, s65                                   // 00000000310C: 807C41FF 00000400
	buffer_load_dword v183, s[20:23], 0 offen lds              // 000000003114: E0511000 800500B7
	v_accvgpr_write_b32 a12, 0                                 // 00000000311C: D3D9400C 18000080
	v_accvgpr_write_b32 a13, 0                                 // 000000003124: D3D9400D 18000080
	v_accvgpr_write_b32 a14, 0                                 // 00000000312C: D3D9400E 18000080
	v_accvgpr_write_b32 a15, 0                                 // 000000003134: D3D9400F 18000080
	v_accvgpr_write_b32 a16, 0                                 // 00000000313C: D3D94010 18000080
	v_accvgpr_write_b32 a17, 0                                 // 000000003144: D3D94011 18000080
	s_add_u32 m0, 0x1080, s64                                  // 00000000314C: 807C40FF 00001080
	buffer_load_dwordx4 v178, s[12:15], 0 offen lds            // 000000003154: E05D1000 800300B2
	v_accvgpr_write_b32 a18, 0                                 // 00000000315C: D3D94012 18000080
	v_accvgpr_write_b32 a19, 0                                 // 000000003164: D3D94013 18000080
	v_accvgpr_write_b32 a20, 0                                 // 00000000316C: D3D94014 18000080
	v_accvgpr_write_b32 a21, 0                                 // 000000003174: D3D94015 18000080
	v_accvgpr_write_b32 a22, 0                                 // 00000000317C: D3D94016 18000080
	v_accvgpr_write_b32 a23, 0                                 // 000000003184: D3D94017 18000080
	buffer_load_dwordx4 v[72:75], v185, s[16:19], 0 offen      // 00000000318C: E05C1000 800448B9
	v_accvgpr_write_b32 a24, 0                                 // 000000003194: D3D94018 18000080
	v_accvgpr_write_b32 a25, 0                                 // 00000000319C: D3D94019 18000080
	v_accvgpr_write_b32 a26, 0                                 // 0000000031A4: D3D9401A 18000080
	v_accvgpr_write_b32 a27, 0                                 // 0000000031AC: D3D9401B 18000080
	v_accvgpr_write_b32 a28, 0                                 // 0000000031B4: D3D9401C 18000080
	v_accvgpr_write_b32 a29, 0                                 // 0000000031BC: D3D9401D 18000080
	buffer_load_dwordx4 v[76:79], v186, s[16:19], 0 offen      // 0000000031C4: E05C1000 80044CBA
	v_accvgpr_write_b32 a30, 0                                 // 0000000031CC: D3D9401E 18000080
	v_accvgpr_write_b32 a31, 0                                 // 0000000031D4: D3D9401F 18000080
	v_accvgpr_write_b32 a32, 0                                 // 0000000031DC: D3D94020 18000080
	v_accvgpr_write_b32 a33, 0                                 // 0000000031E4: D3D94021 18000080
	v_accvgpr_write_b32 a34, 0                                 // 0000000031EC: D3D94022 18000080
	v_accvgpr_write_b32 a35, 0                                 // 0000000031F4: D3D94023 18000080
	buffer_load_dwordx4 v[80:83], v185, s[16:19], 0 offen offset:1024// 0000000031FC: E05C1400 800450B9
	v_accvgpr_write_b32 a36, 0                                 // 000000003204: D3D94024 18000080
	v_accvgpr_write_b32 a37, 0                                 // 00000000320C: D3D94025 18000080
	v_accvgpr_write_b32 a38, 0                                 // 000000003214: D3D94026 18000080
	v_accvgpr_write_b32 a39, 0                                 // 00000000321C: D3D94027 18000080
	v_accvgpr_write_b32 a40, 0                                 // 000000003224: D3D94028 18000080
	v_accvgpr_write_b32 a41, 0                                 // 00000000322C: D3D94029 18000080
	buffer_load_dwordx4 v[84:87], v186, s[16:19], 0 offen offset:1024// 000000003234: E05C1400 800454BA
	v_accvgpr_write_b32 a42, 0                                 // 00000000323C: D3D9402A 18000080
	v_accvgpr_write_b32 a43, 0                                 // 000000003244: D3D9402B 18000080
	v_accvgpr_write_b32 a44, 0                                 // 00000000324C: D3D9402C 18000080
	v_accvgpr_write_b32 a45, 0                                 // 000000003254: D3D9402D 18000080
	v_accvgpr_write_b32 a46, 0                                 // 00000000325C: D3D9402E 18000080
	v_accvgpr_write_b32 a47, 0                                 // 000000003264: D3D9402F 18000080
	buffer_load_dword v172, v191, s[24:27], 0 offen            // 00000000326C: E0501000 8006ACBF
	s_add_u32 s62, 0x200, s60                                  // 000000003274: 803E3CFF 00000200
	s_cmp_lt_u32 s62, s61                                      // 00000000327C: BF0A3D3E
	s_cselect_b32 s66, s66, 0                                  // 000000003280: 85428042
	s_cselect_b32 s68, s68, 0                                  // 000000003284: 85448044
	s_add_u32 s12, s12, s66                                    // 000000003288: 800C420C
	s_addc_u32 s13, 0, s13                                     // 00000000328C: 820D0D80
	s_sub_u32 s14, s14, s66                                    // 000000003290: 808E420E
	s_add_u32 s20, s20, s68                                    // 000000003294: 80144414
	s_addc_u32 s21, 0, s21                                     // 000000003298: 82151580
	s_sub_u32 s22, s22, s68                                    // 00000000329C: 80964416
	buffer_load_dwordx4 v[88:91], v187, s[16:19], 0 offen      // 0000000032A0: E05C1000 800458BB
	buffer_load_dwordx4 v[92:95], v188, s[16:19], 0 offen      // 0000000032A8: E05C1000 80045CBC
	buffer_load_dwordx4 v[96:99], v187, s[16:19], 0 offen offset:1024// 0000000032B0: E05C1400 800460BB
	buffer_load_dwordx4 v[100:103], v188, s[16:19], 0 offen offset:1024// 0000000032B8: E05C1400 800464BC
	buffer_load_dword v173, v192, s[24:27], 0 offen            // 0000000032C0: E0501000 8006ADC0
	buffer_load_dwordx4 v[104:107], v189, s[16:19], 0 offen    // 0000000032C8: E05C1000 800468BD
	buffer_load_dwordx4 v[108:111], v190, s[16:19], 0 offen    // 0000000032D0: E05C1000 80046CBE
	buffer_load_dwordx4 v[112:115], v189, s[16:19], 0 offen offset:1024// 0000000032D8: E05C1400 800470BD
	buffer_load_dwordx4 v[116:119], v190, s[16:19], 0 offen offset:1024// 0000000032E0: E05C1400 800474BE
	buffer_load_dword v174, v193, s[24:27], 0 offen            // 0000000032E8: E0501000 8006AEC1
	s_add_u32 s63, 0x100, s60                                  // 0000000032F0: 803F3CFF 00000100
	s_cmp_lt_u32 s63, s61                                      // 0000000032F8: BF0A3D3F
	s_cselect_b32 s67, s67, 0                                  // 0000000032FC: 85438043
	s_cselect_b32 s69, s69, 0                                  // 000000003300: 85458045
	s_add_u32 s16, s16, s67                                    // 000000003304: 80104310
	s_addc_u32 s17, 0, s17                                     // 000000003308: 82111180
	s_sub_u32 s18, s18, s67                                    // 00000000330C: 80924312
	s_add_u32 s24, s24, s69                                    // 000000003310: 80184518
	s_addc_u32 s25, 0, s25                                     // 000000003314: 82191980
	s_sub_u32 s26, s26, s69                                    // 000000003318: 809A451A
	s_waitcnt vmcnt(15)                                        // 00000000331C: BF8C0F7F
	s_barrier                                                  // 000000003320: BF8A0000
	ds_read_b128 v[8:11], v179                                 // 000000003324: D9FE0000 080000B3
	ds_read_b128 v[16:19], v179 offset:64                      // 00000000332C: D9FE0040 100000B3
	ds_read_b128 v[12:15], v179 offset:512                     // 000000003334: D9FE0200 0C0000B3
	ds_read_b128 v[20:23], v179 offset:576                     // 00000000333C: D9FE0240 140000B3
	ds_read_b32 v168, v184                                     // 000000003344: D86C0000 A80000B8
	ds_read_b128 v[24:27], v180                                // 00000000334C: D9FE0000 180000B4
	ds_read_b128 v[32:35], v180 offset:64                      // 000000003354: D9FE0040 200000B4
	ds_read_b128 v[28:31], v180 offset:512                     // 00000000335C: D9FE0200 1C0000B4
	ds_read_b128 v[36:39], v180 offset:576                     // 000000003364: D9FE0240 240000B4
	ds_read_b32 v169, v184 offset:1024                         // 00000000336C: D86C0400 A90000B8
	s_nop 0                                                    // 000000003374: BF800000
	s_nop 0                                                    // 000000003378: BF800000
	s_nop 0                                                    // 00000000337C: BF800000
	s_nop 0                                                    // 000000003380: BF800000
	s_nop 0                                                    // 000000003384: BF800000
	s_lshl_b32 s36, s36, 1                                     // 000000003388: 8E248124
	s_mul_i32 s62, s48, 32                                     // 00000000338C: 923EA030
	s_mul_hi_u32 s63, s36, s62                                 // 000000003390: 963F3E24
	s_add_u32 s5, s5, s63                                      // 000000003394: 80053F05
	s_mul_i32 s63, s36, s62                                    // 000000003398: 923F3E24
	s_add_u32 s4, s4, s63                                      // 00000000339C: 80043F04
	s_addc_u32 s5, s5, 0                                       // 0000000033A0: 82058005
	s_mul_i32 s63, s47, 0x180                                  // 0000000033A4: 923FFF2F 00000180
	s_lshl_b32 s63, s63, 1                                     // 0000000033AC: 8E3F813F
	s_add_u32 s4, s4, s63                                      // 0000000033B0: 80043F04
	s_addc_u32 s5, s5, 0                                       // 0000000033B4: 82058005
	s_sub_i32 s62, s43, s62                                    // 0000000033B8: 81BE3E2B
	s_cmp_lt_u32 s62, 32                                       // 0000000033BC: BF0AA03E
	s_cselect_b32 s62, s62, 32                                 // 0000000033C0: 853EA03E
	s_mul_i32 s62, s36, s62                                    // 0000000033C4: 923E3E24
	s_sub_i32 s6, s62, s63                                     // 0000000033C8: 81863F3E
	s_mov_b32 s7, 0x20000                                      // 0000000033CC: BE8700FF 00020000
	s_mul_i32 s62, s46, 0x60                                   // 0000000033D4: 923EFF2E 00000060
	s_lshl_b32 s62, s62, 1                                     // 0000000033DC: 8E3E813E
	v_lshrrev_b32_e32 v4, 5, v0                                // 0000000033E0: 20080085
	v_mul_i32_i24_e32 v4, 16, v4                               // 0000000033E4: 0C080890
	v_lshrrev_b32_e32 v5, 4, v0                                // 0000000033E8: 200A0084
	v_and_b32_e32 v5, 1, v5                                    // 0000000033EC: 260A0A81
	v_mul_i32_i24_e32 v5, 32, v5                               // 0000000033F0: 0C0A0AA0
	v_add_u32_e32 v4, v4, v5                                   // 0000000033F4: 68080B04
	v_and_b32_e32 v5, 15, v0                                   // 0000000033F8: 260A008F
	v_mul_lo_u32 v194, s36, v5                                 // 0000000033FC: D28500C2 00020A24
	v_add_u32_e32 v194, s62, v194                              // 000000003404: 6985843E
	v_add_u32_e32 v194, v4, v194                               // 000000003408: 69858504
	s_cmp_lt_i32 s46, 2                                        // 00000000340C: BF04822E
	s_cbranch_scc0 label_04B8                                  // 000000003410: BF8402B3

0000000000003414 <label_0205>:
	s_waitcnt vmcnt(10) lgkmcnt(5)                             // 000000003414: BF8C057A
	v_mfma_scale_f32_16x16x128_f8f6f4 a[0:3], v[72:75], v[8:11], a[0:3], v172, v168 op_sel_hi:[0,0,0] cbsz:4 blgp:4// 000000003418: D3AC6000 000351AC D3AD8C00 84021148
	v_mfma_scale_f32_16x16x128_f8f6f4 a[4:7], v[72:75], v[12:15], a[4:7], v172, v168 op_sel_hi:[0,0,0] cbsz:4 blgp:4// 000000003428: D3AC7000 000351AC D3AD8C04 84121948
	s_add_u32 m0, 0x800, s65                                   // 000000003438: 807C41FF 00000800
	buffer_load_dword v183, s[20:23], 0 offen lds              // 000000003440: E0511000 800500B7
	v_mfma_scale_f32_16x16x128_f8f6f4 a[8:11], v[76:79], v[8:11], a[8:11], v172, v168 op_sel_hi:[0,0,0] cbsz:4 blgp:4// 000000003448: D3AC6800 000351AC D3AD8C08 8422114C
	v_mfma_scale_f32_16x16x128_f8f6f4 a[12:15], v[76:79], v[12:15], a[12:15], v172, v168 op_sel_hi:[0,0,0] cbsz:4 blgp:4// 000000003458: D3AC7800 000351AC D3AD8C0C 8432194C
	s_add_u32 m0, 0x2100, s64                                  // 000000003468: 807C40FF 00002100
	buffer_load_dwordx4 v178, s[12:15], 0 offen lds            // 000000003470: E05D1000 800300B2
	v_mfma_scale_f32_16x16x128_f8f6f4 a[0:3], v[80:83], v[16:19], a[0:3], v172, v168 op_sel_hi:[0,0,0] cbsz:4 blgp:4// 000000003478: D3AC6000 180351AC D3AD8C00 84022150
	s_add_u32 s62, 0x300, s60                                  // 000000003488: 803E3CFF 00000300
	s_cmp_lt_u32 s62, s61                                      // 000000003490: BF0A3D3E
	v_mfma_scale_f32_16x16x128_f8f6f4 a[4:7], v[80:83], v[20:23], a[4:7], v172, v168 op_sel_hi:[0,0,0] cbsz:4 blgp:4// 000000003494: D3AC7000 180351AC D3AD8C04 84122950
	s_cselect_b32 s66, s66, 0                                  // 0000000034A4: 85428042
	buffer_load_dwordx4 v[120:123], v185, s[16:19], 0 offen    // 0000000034A8: E05C1000 800478B9
	v_mfma_scale_f32_16x16x128_f8f6f4 a[8:11], v[84:87], v[16:19], a[8:11], v172, v168 op_sel_hi:[0,0,0] cbsz:4 blgp:4// 0000000034B0: D3AC6800 180351AC D3AD8C08 84222154
	s_cselect_b32 s68, s68, 0                                  // 0000000034C0: 85448044
	s_add_u32 s12, s12, s66                                    // 0000000034C4: 800C420C
	v_mfma_scale_f32_16x16x128_f8f6f4 a[12:15], v[84:87], v[20:23], a[12:15], v172, v168 op_sel_hi:[0,0,0] cbsz:4 blgp:4// 0000000034C8: D3AC7800 180351AC D3AD8C0C 84322954
	s_addc_u32 s13, 0, s13                                     // 0000000034D8: 820D0D80
	buffer_load_dwordx4 v[124:127], v186, s[16:19], 0 offen    // 0000000034DC: E05C1000 80047CBA
	s_sub_u32 s14, s14, s66                                    // 0000000034E4: 808E420E
	s_add_u32 s20, s20, s68                                    // 0000000034E8: 80144414
	buffer_load_dwordx4 v[128:131], v185, s[16:19], 0 offen offset:1024// 0000000034EC: E05C1400 800480B9
	s_addc_u32 s21, 0, s21                                     // 0000000034F4: 82151580
	s_sub_u32 s22, s22, s68                                    // 0000000034F8: 80964416
	buffer_load_dwordx4 v[132:135], v186, s[16:19], 0 offen offset:1024// 0000000034FC: E05C1400 800484BA
	buffer_load_dword v175, v191, s[24:27], 0 offen            // 000000003504: E0501000 8006AFBF
	s_waitcnt vmcnt(12)                                        // 00000000350C: BF8C0F7C
	v_mfma_scale_f32_16x16x128_f8f6f4 a[16:19], v[88:91], v[8:11], a[16:19], v173, v168 op_sel_hi:[0,0,0] cbsz:4 blgp:4// 000000003510: D3AC6000 000351AD D3AD8C10 84421158
	v_mfma_scale_f32_16x16x128_f8f6f4 a[20:23], v[88:91], v[12:15], a[20:23], v173, v168 op_sel_hi:[0,0,0] cbsz:4 blgp:4// 000000003520: D3AC7000 000351AD D3AD8C14 84521958
	buffer_load_dwordx4 v[136:139], v187, s[16:19], 0 offen    // 000000003530: E05C1000 800488BB
	v_mfma_scale_f32_16x16x128_f8f6f4 a[24:27], v[92:95], v[8:11], a[24:27], v173, v168 op_sel_hi:[0,0,0] cbsz:4 blgp:4// 000000003538: D3AC6800 000351AD D3AD8C18 8462115C
	v_mfma_scale_f32_16x16x128_f8f6f4 a[28:31], v[92:95], v[12:15], a[28:31], v173, v168 op_sel_hi:[0,0,0] cbsz:4 blgp:4// 000000003548: D3AC7800 000351AD D3AD8C1C 8472195C
	buffer_load_dwordx4 v[140:143], v188, s[16:19], 0 offen    // 000000003558: E05C1000 80048CBC
	v_mfma_scale_f32_16x16x128_f8f6f4 a[16:19], v[96:99], v[16:19], a[16:19], v173, v168 op_sel_hi:[0,0,0] cbsz:4 blgp:4// 000000003560: D3AC6000 180351AD D3AD8C10 84422160
	v_mfma_scale_f32_16x16x128_f8f6f4 a[20:23], v[96:99], v[20:23], a[20:23], v173, v168 op_sel_hi:[0,0,0] cbsz:4 blgp:4// 000000003570: D3AC7000 180351AD D3AD8C14 84522960
	buffer_load_dwordx4 v[144:147], v187, s[16:19], 0 offen offset:1024// 000000003580: E05C1400 800490BB
	v_mfma_scale_f32_16x16x128_f8f6f4 a[24:27], v[100:103], v[16:19], a[24:27], v173, v168 op_sel_hi:[0,0,0] cbsz:4 blgp:4// 000000003588: D3AC6800 180351AD D3AD8C18 84622164
	v_mfma_scale_f32_16x16x128_f8f6f4 a[28:31], v[100:103], v[20:23], a[28:31], v173, v168 op_sel_hi:[0,0,0] cbsz:4 blgp:4// 000000003598: D3AC7800 180351AD D3AD8C1C 84722964
	buffer_load_dwordx4 v[148:151], v188, s[16:19], 0 offen offset:1024// 0000000035A8: E05C1400 800494BC
	buffer_load_dword v176, v192, s[24:27], 0 offen            // 0000000035B0: E0501000 8006B0C0
	s_waitcnt vmcnt(10)                                        // 0000000035B8: BF8C0F7A
	s_barrier                                                  // 0000000035BC: BF8A0000
	v_mfma_scale_f32_16x16x128_f8f6f4 a[32:35], v[104:107], v[8:11], a[32:35], v174, v168 op_sel_hi:[0,0,0] cbsz:4 blgp:4// 0000000035C0: D3AC6000 000351AE D3AD8C20 84821168
	s_add_u32 s63, 0x200, s60                                  // 0000000035D0: 803F3CFF 00000200
	ds_read_b128 v[40:43], v181                                // 0000000035D8: D9FE0000 280000B5
	v_mfma_scale_f32_16x16x128_f8f6f4 a[36:39], v[104:107], v[12:15], a[36:39], v174, v168 op_sel_hi:[0,0,0] cbsz:4 blgp:4// 0000000035E0: D3AC7000 000351AE D3AD8C24 84921968
	s_cmp_lt_u32 s63, s61                                      // 0000000035F0: BF0A3D3F
	buffer_load_dwordx4 v[152:155], v189, s[16:19], 0 offen    // 0000000035F4: E05C1000 800498BD
	v_mfma_scale_f32_16x16x128_f8f6f4 a[40:43], v[108:111], v[8:11], a[40:43], v174, v168 op_sel_hi:[0,0,0] cbsz:4 blgp:4// 0000000035FC: D3AC6800 000351AE D3AD8C28 84A2116C
	s_cselect_b32 s67, s67, 0                                  // 00000000360C: 85438043
	ds_read_b128 v[48:51], v181 offset:64                      // 000000003610: D9FE0040 300000B5
	v_mfma_scale_f32_16x16x128_f8f6f4 a[44:47], v[108:111], v[12:15], a[44:47], v174, v168 op_sel_hi:[0,0,0] cbsz:4 blgp:4// 000000003618: D3AC7800 000351AE D3AD8C2C 84B2196C
	s_cselect_b32 s69, s69, 0                                  // 000000003628: 85458045
	buffer_load_dwordx4 v[156:159], v190, s[16:19], 0 offen    // 00000000362C: E05C1000 80049CBE
	v_mfma_scale_f32_16x16x128_f8f6f4 a[32:35], v[112:115], v[16:19], a[32:35], v174, v168 op_sel_hi:[0,0,0] cbsz:4 blgp:4// 000000003634: D3AC6000 180351AE D3AD8C20 84822170
	ds_read_b128 v[44:47], v181 offset:512                     // 000000003644: D9FE0200 2C0000B5
	v_mfma_scale_f32_16x16x128_f8f6f4 a[36:39], v[112:115], v[20:23], a[36:39], v174, v168 op_sel_hi:[0,0,0] cbsz:4 blgp:4// 00000000364C: D3AC7000 180351AE D3AD8C24 84922970
	buffer_load_dwordx4 v[160:163], v189, s[16:19], 0 offen offset:1024// 00000000365C: E05C1400 8004A0BD
	v_mfma_scale_f32_16x16x128_f8f6f4 a[40:43], v[116:119], v[16:19], a[40:43], v174, v168 op_sel_hi:[0,0,0] cbsz:4 blgp:4// 000000003664: D3AC6800 180351AE D3AD8C28 84A22174
	ds_read_b128 v[52:55], v181 offset:576                     // 000000003674: D9FE0240 340000B5
	v_mfma_scale_f32_16x16x128_f8f6f4 a[44:47], v[116:119], v[20:23], a[44:47], v174, v168 op_sel_hi:[0,0,0] cbsz:4 blgp:4// 00000000367C: D3AC7800 180351AE D3AD8C2C 84B22974
	buffer_load_dwordx4 v[164:167], v190, s[16:19], 0 offen offset:1024// 00000000368C: E05C1400 8004A4BE
	ds_read_b32 v170, v184 offset:2048                         // 000000003694: D86C0800 AA0000B8
	buffer_load_dword v177, v193, s[24:27], 0 offen            // 00000000369C: E0501000 8006B1C1
	s_add_u32 s16, s16, s67                                    // 0000000036A4: 80104310
	s_addc_u32 s17, 0, s17                                     // 0000000036A8: 82111180
	s_sub_u32 s18, s18, s67                                    // 0000000036AC: 80924312
	s_add_u32 s24, s24, s69                                    // 0000000036B0: 80184518
	s_addc_u32 s25, 0, s25                                     // 0000000036B4: 82191980
	s_sub_u32 s26, s26, s69                                    // 0000000036B8: 809A451A
	s_addk_i32 s60, 0x100                                      // 0000000036BC: B73C0100
	s_cmp_lt_i32 s60, s61                                      // 0000000036C0: BF043D3C
	s_cbranch_scc0 label_076B                                  // 0000000036C4: BF8404B9
	s_waitcnt vmcnt(10) lgkmcnt(5)                             // 0000000036C8: BF8C057A
	v_mfma_scale_f32_16x16x128_f8f6f4 a[0:3], v[120:123], v[24:27], a[0:3], v175, v169 op_sel_hi:[0,0,0] cbsz:4 blgp:4// 0000000036CC: D3AC6000 000353AF D3AD8C00 84023178
	v_mfma_scale_f32_16x16x128_f8f6f4 a[4:7], v[120:123], v[28:31], a[4:7], v175, v169 op_sel_hi:[0,0,0] cbsz:4 blgp:4// 0000000036DC: D3AC7000 000353AF D3AD8C04 84123978
	s_add_u32 m0, 0xc00, s65                                   // 0000000036EC: 807C41FF 00000C00
	buffer_load_dword v183, s[20:23], 0 offen lds              // 0000000036F4: E0511000 800500B7
	v_mfma_scale_f32_16x16x128_f8f6f4 a[8:11], v[124:127], v[24:27], a[8:11], v175, v169 op_sel_hi:[0,0,0] cbsz:4 blgp:4// 0000000036FC: D3AC6800 000353AF D3AD8C08 8422317C
	v_mfma_scale_f32_16x16x128_f8f6f4 a[12:15], v[124:127], v[28:31], a[12:15], v175, v169 op_sel_hi:[0,0,0] cbsz:4 blgp:4// 00000000370C: D3AC7800 000353AF D3AD8C0C 8432397C
	s_add_u32 m0, 0x3180, s64                                  // 00000000371C: 807C40FF 00003180
	buffer_load_dwordx4 v178, s[12:15], 0 offen lds            // 000000003724: E05D1000 800300B2
	v_mfma_scale_f32_16x16x128_f8f6f4 a[0:3], v[128:131], v[32:35], a[0:3], v175, v169 op_sel_hi:[0,0,0] cbsz:4 blgp:4// 00000000372C: D3AC6000 180353AF D3AD8C00 84024180
	s_add_u32 s62, 0x300, s60                                  // 00000000373C: 803E3CFF 00000300
	s_cmp_lt_u32 s62, s61                                      // 000000003744: BF0A3D3E
	v_mfma_scale_f32_16x16x128_f8f6f4 a[4:7], v[128:131], v[36:39], a[4:7], v175, v169 op_sel_hi:[0,0,0] cbsz:4 blgp:4// 000000003748: D3AC7000 180353AF D3AD8C04 84124980
	s_cselect_b32 s66, s66, 0                                  // 000000003758: 85428042
	buffer_load_dwordx4 v[72:75], v185, s[16:19], 0 offen      // 00000000375C: E05C1000 800448B9
	v_mfma_scale_f32_16x16x128_f8f6f4 a[8:11], v[132:135], v[32:35], a[8:11], v175, v169 op_sel_hi:[0,0,0] cbsz:4 blgp:4// 000000003764: D3AC6800 180353AF D3AD8C08 84224184
	s_cselect_b32 s68, s68, 0                                  // 000000003774: 85448044
	s_add_u32 s12, s12, s66                                    // 000000003778: 800C420C
	v_mfma_scale_f32_16x16x128_f8f6f4 a[12:15], v[132:135], v[36:39], a[12:15], v175, v169 op_sel_hi:[0,0,0] cbsz:4 blgp:4// 00000000377C: D3AC7800 180353AF D3AD8C0C 84324984
	s_addc_u32 s13, 0, s13                                     // 00000000378C: 820D0D80
	buffer_load_dwordx4 v[76:79], v186, s[16:19], 0 offen      // 000000003790: E05C1000 80044CBA
	s_sub_u32 s14, s14, s66                                    // 000000003798: 808E420E
	s_add_u32 s20, s20, s68                                    // 00000000379C: 80144414
	buffer_load_dwordx4 v[80:83], v185, s[16:19], 0 offen offset:1024// 0000000037A0: E05C1400 800450B9
	s_addc_u32 s21, 0, s21                                     // 0000000037A8: 82151580
	s_sub_u32 s22, s22, s68                                    // 0000000037AC: 80964416
	buffer_load_dwordx4 v[84:87], v186, s[16:19], 0 offen offset:1024// 0000000037B0: E05C1400 800454BA
	buffer_load_dword v172, v191, s[24:27], 0 offen            // 0000000037B8: E0501000 8006ACBF
	s_waitcnt vmcnt(12)                                        // 0000000037C0: BF8C0F7C
	v_mfma_scale_f32_16x16x128_f8f6f4 a[16:19], v[136:139], v[24:27], a[16:19], v176, v169 op_sel_hi:[0,0,0] cbsz:4 blgp:4// 0000000037C4: D3AC6000 000353B0 D3AD8C10 84423188
	v_mfma_scale_f32_16x16x128_f8f6f4 a[20:23], v[136:139], v[28:31], a[20:23], v176, v169 op_sel_hi:[0,0,0] cbsz:4 blgp:4// 0000000037D4: D3AC7000 000353B0 D3AD8C14 84523988
	buffer_load_dwordx4 v[88:91], v187, s[16:19], 0 offen      // 0000000037E4: E05C1000 800458BB
	v_mfma_scale_f32_16x16x128_f8f6f4 a[24:27], v[140:143], v[24:27], a[24:27], v176, v169 op_sel_hi:[0,0,0] cbsz:4 blgp:4// 0000000037EC: D3AC6800 000353B0 D3AD8C18 8462318C
	v_mfma_scale_f32_16x16x128_f8f6f4 a[28:31], v[140:143], v[28:31], a[28:31], v176, v169 op_sel_hi:[0,0,0] cbsz:4 blgp:4// 0000000037FC: D3AC7800 000353B0 D3AD8C1C 8472398C
	buffer_load_dwordx4 v[92:95], v188, s[16:19], 0 offen      // 00000000380C: E05C1000 80045CBC
	v_mfma_scale_f32_16x16x128_f8f6f4 a[16:19], v[144:147], v[32:35], a[16:19], v176, v169 op_sel_hi:[0,0,0] cbsz:4 blgp:4// 000000003814: D3AC6000 180353B0 D3AD8C10 84424190
	v_mfma_scale_f32_16x16x128_f8f6f4 a[20:23], v[144:147], v[36:39], a[20:23], v176, v169 op_sel_hi:[0,0,0] cbsz:4 blgp:4// 000000003824: D3AC7000 180353B0 D3AD8C14 84524990
	buffer_load_dwordx4 v[96:99], v187, s[16:19], 0 offen offset:1024// 000000003834: E05C1400 800460BB
	v_mfma_scale_f32_16x16x128_f8f6f4 a[24:27], v[148:151], v[32:35], a[24:27], v176, v169 op_sel_hi:[0,0,0] cbsz:4 blgp:4// 00000000383C: D3AC6800 180353B0 D3AD8C18 84624194
	v_mfma_scale_f32_16x16x128_f8f6f4 a[28:31], v[148:151], v[36:39], a[28:31], v176, v169 op_sel_hi:[0,0,0] cbsz:4 blgp:4// 00000000384C: D3AC7800 180353B0 D3AD8C1C 84724994
	buffer_load_dwordx4 v[100:103], v188, s[16:19], 0 offen offset:1024// 00000000385C: E05C1400 800464BC
	buffer_load_dword v173, v192, s[24:27], 0 offen            // 000000003864: E0501000 8006ADC0
	s_waitcnt vmcnt(10)                                        // 00000000386C: BF8C0F7A
	s_barrier                                                  // 000000003870: BF8A0000
	v_mfma_scale_f32_16x16x128_f8f6f4 a[32:35], v[152:155], v[24:27], a[32:35], v177, v169 op_sel_hi:[0,0,0] cbsz:4 blgp:4// 000000003874: D3AC6000 000353B1 D3AD8C20 84823198
	s_add_u32 s63, 0x200, s60                                  // 000000003884: 803F3CFF 00000200
	ds_read_b128 v[56:59], v182                                // 00000000388C: D9FE0000 380000B6
	v_mfma_scale_f32_16x16x128_f8f6f4 a[36:39], v[152:155], v[28:31], a[36:39], v177, v169 op_sel_hi:[0,0,0] cbsz:4 blgp:4// 000000003894: D3AC7000 000353B1 D3AD8C24 84923998
	s_cmp_lt_u32 s63, s61                                      // 0000000038A4: BF0A3D3F
	buffer_load_dwordx4 v[104:107], v189, s[16:19], 0 offen    // 0000000038A8: E05C1000 800468BD
	v_mfma_scale_f32_16x16x128_f8f6f4 a[40:43], v[156:159], v[24:27], a[40:43], v177, v169 op_sel_hi:[0,0,0] cbsz:4 blgp:4// 0000000038B0: D3AC6800 000353B1 D3AD8C28 84A2319C
	s_cselect_b32 s67, s67, 0                                  // 0000000038C0: 85438043
	ds_read_b128 v[64:67], v182 offset:64                      // 0000000038C4: D9FE0040 400000B6
	v_mfma_scale_f32_16x16x128_f8f6f4 a[44:47], v[156:159], v[28:31], a[44:47], v177, v169 op_sel_hi:[0,0,0] cbsz:4 blgp:4// 0000000038CC: D3AC7800 000353B1 D3AD8C2C 84B2399C
	s_cselect_b32 s69, s69, 0                                  // 0000000038DC: 85458045
	buffer_load_dwordx4 v[108:111], v190, s[16:19], 0 offen    // 0000000038E0: E05C1000 80046CBE
	v_mfma_scale_f32_16x16x128_f8f6f4 a[32:35], v[160:163], v[32:35], a[32:35], v177, v169 op_sel_hi:[0,0,0] cbsz:4 blgp:4// 0000000038E8: D3AC6000 180353B1 D3AD8C20 848241A0
	ds_read_b128 v[60:63], v182 offset:512                     // 0000000038F8: D9FE0200 3C0000B6
	v_mfma_scale_f32_16x16x128_f8f6f4 a[36:39], v[160:163], v[36:39], a[36:39], v177, v169 op_sel_hi:[0,0,0] cbsz:4 blgp:4// 000000003900: D3AC7000 180353B1 D3AD8C24 849249A0
	buffer_load_dwordx4 v[112:115], v189, s[16:19], 0 offen offset:1024// 000000003910: E05C1400 800470BD
	v_mfma_scale_f32_16x16x128_f8f6f4 a[40:43], v[164:167], v[32:35], a[40:43], v177, v169 op_sel_hi:[0,0,0] cbsz:4 blgp:4// 000000003918: D3AC6800 180353B1 D3AD8C28 84A241A4
	ds_read_b128 v[68:71], v182 offset:576                     // 000000003928: D9FE0240 440000B6
	v_mfma_scale_f32_16x16x128_f8f6f4 a[44:47], v[164:167], v[36:39], a[44:47], v177, v169 op_sel_hi:[0,0,0] cbsz:4 blgp:4// 000000003930: D3AC7800 180353B1 D3AD8C2C 84B249A4
	buffer_load_dwordx4 v[116:119], v190, s[16:19], 0 offen offset:1024// 000000003940: E05C1400 800474BE
	ds_read_b32 v171, v184 offset:3072                         // 000000003948: D86C0C00 AB0000B8
	buffer_load_dword v174, v193, s[24:27], 0 offen            // 000000003950: E0501000 8006AEC1
	s_add_u32 s16, s16, s67                                    // 000000003958: 80104310
	s_addc_u32 s17, 0, s17                                     // 00000000395C: 82111180
	s_sub_u32 s18, s18, s67                                    // 000000003960: 80924312
	s_add_u32 s24, s24, s69                                    // 000000003964: 80184518
	s_addc_u32 s25, 0, s25                                     // 000000003968: 82191980
	s_sub_u32 s26, s26, s69                                    // 00000000396C: 809A451A
	s_addk_i32 s60, 0x100                                      // 000000003970: B73C0100
	s_cmp_lt_i32 s60, s61                                      // 000000003974: BF043D3C
	s_cbranch_scc0 label_076B                                  // 000000003978: BF84040C
	s_waitcnt vmcnt(10) lgkmcnt(5)                             // 00000000397C: BF8C057A
	v_mfma_scale_f32_16x16x128_f8f6f4 a[0:3], v[72:75], v[40:43], a[0:3], v172, v170 op_sel_hi:[0,0,0] cbsz:4 blgp:4// 000000003980: D3AC6000 000355AC D3AD8C00 84025148
	v_mfma_scale_f32_16x16x128_f8f6f4 a[4:7], v[72:75], v[44:47], a[4:7], v172, v170 op_sel_hi:[0,0,0] cbsz:4 blgp:4// 000000003990: D3AC7000 000355AC D3AD8C04 84125948
	s_add_u32 m0, 0, s65                                       // 0000000039A0: 807C4180
	buffer_load_dword v183, s[20:23], 0 offen lds              // 0000000039A4: E0511000 800500B7
	v_mfma_scale_f32_16x16x128_f8f6f4 a[8:11], v[76:79], v[40:43], a[8:11], v172, v170 op_sel_hi:[0,0,0] cbsz:4 blgp:4// 0000000039AC: D3AC6800 000355AC D3AD8C08 8422514C
	v_mfma_scale_f32_16x16x128_f8f6f4 a[12:15], v[76:79], v[44:47], a[12:15], v172, v170 op_sel_hi:[0,0,0] cbsz:4 blgp:4// 0000000039BC: D3AC7800 000355AC D3AD8C0C 8432594C
	s_add_u32 m0, 0, s64                                       // 0000000039CC: 807C4080
	buffer_load_dwordx4 v178, s[12:15], 0 offen lds            // 0000000039D0: E05D1000 800300B2
	v_mfma_scale_f32_16x16x128_f8f6f4 a[0:3], v[80:83], v[48:51], a[0:3], v172, v170 op_sel_hi:[0,0,0] cbsz:4 blgp:4// 0000000039D8: D3AC6000 180355AC D3AD8C00 84026150
	s_add_u32 s62, 0x300, s60                                  // 0000000039E8: 803E3CFF 00000300
	s_cmp_lt_u32 s62, s61                                      // 0000000039F0: BF0A3D3E
	v_mfma_scale_f32_16x16x128_f8f6f4 a[4:7], v[80:83], v[52:55], a[4:7], v172, v170 op_sel_hi:[0,0,0] cbsz:4 blgp:4// 0000000039F4: D3AC7000 180355AC D3AD8C04 84126950
	s_cselect_b32 s66, s66, 0                                  // 000000003A04: 85428042
	buffer_load_dwordx4 v[120:123], v185, s[16:19], 0 offen    // 000000003A08: E05C1000 800478B9
	v_mfma_scale_f32_16x16x128_f8f6f4 a[8:11], v[84:87], v[48:51], a[8:11], v172, v170 op_sel_hi:[0,0,0] cbsz:4 blgp:4// 000000003A10: D3AC6800 180355AC D3AD8C08 84226154
	s_cselect_b32 s68, s68, 0                                  // 000000003A20: 85448044
	s_add_u32 s12, s12, s66                                    // 000000003A24: 800C420C
	v_mfma_scale_f32_16x16x128_f8f6f4 a[12:15], v[84:87], v[52:55], a[12:15], v172, v170 op_sel_hi:[0,0,0] cbsz:4 blgp:4// 000000003A28: D3AC7800 180355AC D3AD8C0C 84326954
	s_addc_u32 s13, 0, s13                                     // 000000003A38: 820D0D80
	buffer_load_dwordx4 v[124:127], v186, s[16:19], 0 offen    // 000000003A3C: E05C1000 80047CBA
	s_sub_u32 s14, s14, s66                                    // 000000003A44: 808E420E
	s_add_u32 s20, s20, s68                                    // 000000003A48: 80144414
	buffer_load_dwordx4 v[128:131], v185, s[16:19], 0 offen offset:1024// 000000003A4C: E05C1400 800480B9
	s_addc_u32 s21, 0, s21                                     // 000000003A54: 82151580
	s_sub_u32 s22, s22, s68                                    // 000000003A58: 80964416
	buffer_load_dwordx4 v[132:135], v186, s[16:19], 0 offen offset:1024// 000000003A5C: E05C1400 800484BA
	buffer_load_dword v175, v191, s[24:27], 0 offen            // 000000003A64: E0501000 8006AFBF
	s_waitcnt vmcnt(12)                                        // 000000003A6C: BF8C0F7C
	v_mfma_scale_f32_16x16x128_f8f6f4 a[16:19], v[88:91], v[40:43], a[16:19], v173, v170 op_sel_hi:[0,0,0] cbsz:4 blgp:4// 000000003A70: D3AC6000 000355AD D3AD8C10 84425158
	v_mfma_scale_f32_16x16x128_f8f6f4 a[20:23], v[88:91], v[44:47], a[20:23], v173, v170 op_sel_hi:[0,0,0] cbsz:4 blgp:4// 000000003A80: D3AC7000 000355AD D3AD8C14 84525958
	buffer_load_dwordx4 v[136:139], v187, s[16:19], 0 offen    // 000000003A90: E05C1000 800488BB
	v_mfma_scale_f32_16x16x128_f8f6f4 a[24:27], v[92:95], v[40:43], a[24:27], v173, v170 op_sel_hi:[0,0,0] cbsz:4 blgp:4// 000000003A98: D3AC6800 000355AD D3AD8C18 8462515C
	v_mfma_scale_f32_16x16x128_f8f6f4 a[28:31], v[92:95], v[44:47], a[28:31], v173, v170 op_sel_hi:[0,0,0] cbsz:4 blgp:4// 000000003AA8: D3AC7800 000355AD D3AD8C1C 8472595C
	buffer_load_dwordx4 v[140:143], v188, s[16:19], 0 offen    // 000000003AB8: E05C1000 80048CBC
	v_mfma_scale_f32_16x16x128_f8f6f4 a[16:19], v[96:99], v[48:51], a[16:19], v173, v170 op_sel_hi:[0,0,0] cbsz:4 blgp:4// 000000003AC0: D3AC6000 180355AD D3AD8C10 84426160
	v_mfma_scale_f32_16x16x128_f8f6f4 a[20:23], v[96:99], v[52:55], a[20:23], v173, v170 op_sel_hi:[0,0,0] cbsz:4 blgp:4// 000000003AD0: D3AC7000 180355AD D3AD8C14 84526960
	buffer_load_dwordx4 v[144:147], v187, s[16:19], 0 offen offset:1024// 000000003AE0: E05C1400 800490BB
	v_mfma_scale_f32_16x16x128_f8f6f4 a[24:27], v[100:103], v[48:51], a[24:27], v173, v170 op_sel_hi:[0,0,0] cbsz:4 blgp:4// 000000003AE8: D3AC6800 180355AD D3AD8C18 84626164
	v_mfma_scale_f32_16x16x128_f8f6f4 a[28:31], v[100:103], v[52:55], a[28:31], v173, v170 op_sel_hi:[0,0,0] cbsz:4 blgp:4// 000000003AF8: D3AC7800 180355AD D3AD8C1C 84726964
	buffer_load_dwordx4 v[148:151], v188, s[16:19], 0 offen offset:1024// 000000003B08: E05C1400 800494BC
	buffer_load_dword v176, v192, s[24:27], 0 offen            // 000000003B10: E0501000 8006B0C0
	s_waitcnt vmcnt(10)                                        // 000000003B18: BF8C0F7A
	s_barrier                                                  // 000000003B1C: BF8A0000
	v_mfma_scale_f32_16x16x128_f8f6f4 a[32:35], v[104:107], v[40:43], a[32:35], v174, v170 op_sel_hi:[0,0,0] cbsz:4 blgp:4// 000000003B20: D3AC6000 000355AE D3AD8C20 84825168
	s_add_u32 s63, 0x200, s60                                  // 000000003B30: 803F3CFF 00000200
	ds_read_b128 v[8:11], v179                                 // 000000003B38: D9FE0000 080000B3
	v_mfma_scale_f32_16x16x128_f8f6f4 a[36:39], v[104:107], v[44:47], a[36:39], v174, v170 op_sel_hi:[0,0,0] cbsz:4 blgp:4// 000000003B40: D3AC7000 000355AE D3AD8C24 84925968
	s_cmp_lt_u32 s63, s61                                      // 000000003B50: BF0A3D3F
	buffer_load_dwordx4 v[152:155], v189, s[16:19], 0 offen    // 000000003B54: E05C1000 800498BD
	v_mfma_scale_f32_16x16x128_f8f6f4 a[40:43], v[108:111], v[40:43], a[40:43], v174, v170 op_sel_hi:[0,0,0] cbsz:4 blgp:4// 000000003B5C: D3AC4800 000355AE D3AD8C28 84A2516C
	s_cselect_b32 s67, s67, 0                                  // 000000003B6C: 85438043
	ds_read_b128 v[16:19], v179 offset:64                      // 000000003B70: D9FE0040 100000B3
	v_mfma_scale_f32_16x16x128_f8f6f4 a[44:47], v[108:111], v[44:47], a[44:47], v174, v170 op_sel_hi:[0,0,0] cbsz:4 blgp:4// 000000003B78: D3AC7800 000355AE D3AD8C2C 84B2596C
	s_cselect_b32 s69, s69, 0                                  // 000000003B88: 85458045
	buffer_load_dwordx4 v[156:159], v190, s[16:19], 0 offen    // 000000003B8C: E05C1000 80049CBE
	v_mfma_scale_f32_16x16x128_f8f6f4 a[32:35], v[112:115], v[48:51], a[32:35], v174, v170 op_sel_hi:[0,0,0] cbsz:4 blgp:4// 000000003B94: D3AC4000 180355AE D3AD8C20 84826170
	ds_read_b128 v[12:15], v179 offset:512                     // 000000003BA4: D9FE0200 0C0000B3
	v_mfma_scale_f32_16x16x128_f8f6f4 a[36:39], v[112:115], v[52:55], a[36:39], v174, v170 op_sel_hi:[0,0,0] cbsz:4 blgp:4// 000000003BAC: D3AC5000 180355AE D3AD8C24 84926970
	buffer_load_dwordx4 v[160:163], v189, s[16:19], 0 offen offset:1024// 000000003BBC: E05C1400 8004A0BD
	v_mfma_scale_f32_16x16x128_f8f6f4 a[40:43], v[116:119], v[48:51], a[40:43], v174, v170 op_sel_hi:[0,0,0] cbsz:4 blgp:4// 000000003BC4: D3AC6800 180355AE D3AD8C28 84A26174
	ds_read_b128 v[20:23], v179 offset:576                     // 000000003BD4: D9FE0240 140000B3
	v_mfma_scale_f32_16x16x128_f8f6f4 a[44:47], v[116:119], v[52:55], a[44:47], v174, v170 op_sel_hi:[0,0,0] cbsz:4 blgp:4// 000000003BDC: D3AC7800 180355AE D3AD8C2C 84B26974
	buffer_load_dwordx4 v[164:167], v190, s[16:19], 0 offen offset:1024// 000000003BEC: E05C1400 8004A4BE
	ds_read_b32 v168, v184                                     // 000000003BF4: D86C0000 A80000B8
	buffer_load_dword v177, v193, s[24:27], 0 offen            // 000000003BFC: E0501000 8006B1C1
	s_add_u32 s16, s16, s67                                    // 000000003C04: 80104310
	s_addc_u32 s17, 0, s17                                     // 000000003C08: 82111180
	s_sub_u32 s18, s18, s67                                    // 000000003C0C: 80924312
	s_add_u32 s24, s24, s69                                    // 000000003C10: 80184518
	s_addc_u32 s25, 0, s25                                     // 000000003C14: 82191980
	s_sub_u32 s26, s26, s69                                    // 000000003C18: 809A451A
	s_addk_i32 s60, 0x100                                      // 000000003C1C: B73C0100
	s_cmp_lt_i32 s60, s61                                      // 000000003C20: BF043D3C
	s_cbranch_scc0 label_076B                                  // 000000003C24: BF840361
	s_waitcnt vmcnt(10) lgkmcnt(5)                             // 000000003C28: BF8C057A
	v_mfma_scale_f32_16x16x128_f8f6f4 a[0:3], v[120:123], v[56:59], a[0:3], v175, v171 op_sel_hi:[0,0,0] cbsz:4 blgp:4// 000000003C2C: D3AC6000 000357AF D3AD8C00 84027178
	v_mfma_scale_f32_16x16x128_f8f6f4 a[4:7], v[120:123], v[60:63], a[4:7], v175, v171 op_sel_hi:[0,0,0] cbsz:4 blgp:4// 000000003C3C: D3AC7000 000357AF D3AD8C04 84127978
	s_add_u32 m0, 0x400, s65                                   // 000000003C4C: 807C41FF 00000400
	buffer_load_dword v183, s[20:23], 0 offen lds              // 000000003C54: E0511000 800500B7
	v_mfma_scale_f32_16x16x128_f8f6f4 a[8:11], v[124:127], v[56:59], a[8:11], v175, v171 op_sel_hi:[0,0,0] cbsz:4 blgp:4// 000000003C5C: D3AC6800 000357AF D3AD8C08 8422717C
	v_mfma_scale_f32_16x16x128_f8f6f4 a[12:15], v[124:127], v[60:63], a[12:15], v175, v171 op_sel_hi:[0,0,0] cbsz:4 blgp:4// 000000003C6C: D3AC5800 000357AF D3AD8C0C 8432797C
	s_add_u32 m0, 0x1080, s64                                  // 000000003C7C: 807C40FF 00001080
	buffer_load_dwordx4 v178, s[12:15], 0 offen lds            // 000000003C84: E05D1000 800300B2
	v_mfma_scale_f32_16x16x128_f8f6f4 a[0:3], v[128:131], v[64:67], a[0:3], v175, v171 op_sel_hi:[0,0,0] cbsz:4 blgp:4// 000000003C8C: D3AC6000 180357AF D3AD8C00 84028180
	s_add_u32 s62, 0x300, s60                                  // 000000003C9C: 803E3CFF 00000300
	s_cmp_lt_u32 s62, s61                                      // 000000003CA4: BF0A3D3E
	v_mfma_scale_f32_16x16x128_f8f6f4 a[4:7], v[128:131], v[68:71], a[4:7], v175, v171 op_sel_hi:[0,0,0] cbsz:4 blgp:4// 000000003CA8: D3AC7000 180357AF D3AD8C04 84128980
	s_cselect_b32 s66, s66, 0                                  // 000000003CB8: 85428042
	buffer_load_dwordx4 v[72:75], v185, s[16:19], 0 offen      // 000000003CBC: E05C1000 800448B9
	v_mfma_scale_f32_16x16x128_f8f6f4 a[8:11], v[132:135], v[64:67], a[8:11], v175, v171 op_sel_hi:[0,0,0] cbsz:4 blgp:4// 000000003CC4: D3AC6800 180357AF D3AD8C08 84228184
	s_cselect_b32 s68, s68, 0                                  // 000000003CD4: 85448044
	s_add_u32 s12, s12, s66                                    // 000000003CD8: 800C420C
	v_mfma_scale_f32_16x16x128_f8f6f4 a[12:15], v[132:135], v[68:71], a[12:15], v175, v171 op_sel_hi:[0,0,0] cbsz:4 blgp:4// 000000003CDC: D3AC5800 180357AF D3AD8C0C 84328984
	s_addc_u32 s13, 0, s13                                     // 000000003CEC: 820D0D80
	buffer_load_dwordx4 v[76:79], v186, s[16:19], 0 offen      // 000000003CF0: E05C1000 80044CBA
	s_sub_u32 s14, s14, s66                                    // 000000003CF8: 808E420E
	s_add_u32 s20, s20, s68                                    // 000000003CFC: 80144414
	buffer_load_dwordx4 v[80:83], v185, s[16:19], 0 offen offset:1024// 000000003D00: E05C1400 800450B9
	s_addc_u32 s21, 0, s21                                     // 000000003D08: 82151580
	s_sub_u32 s22, s22, s68                                    // 000000003D0C: 80964416
	buffer_load_dwordx4 v[84:87], v186, s[16:19], 0 offen offset:1024// 000000003D10: E05C1400 800454BA
	buffer_load_dword v172, v191, s[24:27], 0 offen            // 000000003D18: E0501000 8006ACBF
	s_waitcnt vmcnt(12)                                        // 000000003D20: BF8C0F7C
	v_mfma_scale_f32_16x16x128_f8f6f4 a[16:19], v[136:139], v[56:59], a[16:19], v176, v171 op_sel_hi:[0,0,0] cbsz:4 blgp:4// 000000003D24: D3AC6000 000357B0 D3AD8C10 84427188
	v_mfma_scale_f32_16x16x128_f8f6f4 a[20:23], v[136:139], v[60:63], a[20:23], v176, v171 op_sel_hi:[0,0,0] cbsz:4 blgp:4// 000000003D34: D3AC7000 000357B0 D3AD8C14 84527988
	buffer_load_dwordx4 v[88:91], v187, s[16:19], 0 offen      // 000000003D44: E05C1000 800458BB
	v_mfma_scale_f32_16x16x128_f8f6f4 a[24:27], v[140:143], v[56:59], a[24:27], v176, v171 op_sel_hi:[0,0,0] cbsz:4 blgp:4// 000000003D4C: D3AC4800 000357B0 D3AD8C18 8462718C
	v_mfma_scale_f32_16x16x128_f8f6f4 a[28:31], v[140:143], v[60:63], a[28:31], v176, v171 op_sel_hi:[0,0,0] cbsz:4 blgp:4// 000000003D5C: D3AC7800 000357B0 D3AD8C1C 8472798C
	buffer_load_dwordx4 v[92:95], v188, s[16:19], 0 offen      // 000000003D6C: E05C1000 80045CBC
	v_mfma_scale_f32_16x16x128_f8f6f4 a[16:19], v[144:147], v[64:67], a[16:19], v176, v171 op_sel_hi:[0,0,0] cbsz:4 blgp:4// 000000003D74: D3AC6000 180357B0 D3AD8C10 84428190
	v_mfma_scale_f32_16x16x128_f8f6f4 a[20:23], v[144:147], v[68:71], a[20:23], v176, v171 op_sel_hi:[0,0,0] cbsz:4 blgp:4// 000000003D84: D3AC7000 180357B0 D3AD8C14 84528990
	buffer_load_dwordx4 v[96:99], v187, s[16:19], 0 offen offset:1024// 000000003D94: E05C1400 800460BB
	v_mfma_scale_f32_16x16x128_f8f6f4 a[24:27], v[148:151], v[64:67], a[24:27], v176, v171 op_sel_hi:[0,0,0] cbsz:4 blgp:4// 000000003D9C: D3AC6800 180357B0 D3AD8C18 84628194
	v_mfma_scale_f32_16x16x128_f8f6f4 a[28:31], v[148:151], v[68:71], a[28:31], v176, v171 op_sel_hi:[0,0,0] cbsz:4 blgp:4// 000000003DAC: D3AC7800 180357B0 D3AD8C1C 84728994
	buffer_load_dwordx4 v[100:103], v188, s[16:19], 0 offen offset:1024// 000000003DBC: E05C1400 800464BC
	buffer_load_dword v173, v192, s[24:27], 0 offen            // 000000003DC4: E0501000 8006ADC0
	s_waitcnt vmcnt(10)                                        // 000000003DCC: BF8C0F7A
	s_barrier                                                  // 000000003DD0: BF8A0000
	v_mfma_scale_f32_16x16x128_f8f6f4 a[32:35], v[152:155], v[56:59], a[32:35], v177, v171 op_sel_hi:[0,0,0] cbsz:4 blgp:4// 000000003DD4: D3AC2000 000357B1 D3AD8C20 84827198
	s_add_u32 s63, 0x200, s60                                  // 000000003DE4: 803F3CFF 00000200
	ds_read_b128 v[24:27], v180                                // 000000003DEC: D9FE0000 180000B4
	v_mfma_scale_f32_16x16x128_f8f6f4 a[36:39], v[152:155], v[60:63], a[36:39], v177, v171 op_sel_hi:[0,0,0] cbsz:4 blgp:4// 000000003DF4: D3AC7000 000357B1 D3AD8C24 84927998
	s_cmp_lt_u32 s63, s61                                      // 000000003E04: BF0A3D3F
	buffer_load_dwordx4 v[104:107], v189, s[16:19], 0 offen    // 000000003E08: E05C1000 800468BD
	v_mfma_scale_f32_16x16x128_f8f6f4 a[40:43], v[156:159], v[56:59], a[40:43], v177, v171 op_sel_hi:[0,0,0] cbsz:4 blgp:4// 000000003E10: D3AC6800 000357B1 D3AD8C28 84A2719C
	s_cselect_b32 s67, s67, 0                                  // 000000003E20: 85438043
	ds_read_b128 v[32:35], v180 offset:64                      // 000000003E24: D9FE0040 200000B4
	v_mfma_scale_f32_16x16x128_f8f6f4 a[44:47], v[156:159], v[60:63], a[44:47], v177, v171 op_sel_hi:[0,0,0] cbsz:4 blgp:4// 000000003E2C: D3AC7800 000357B1 D3AD8C2C 84B2799C
	s_cselect_b32 s69, s69, 0                                  // 000000003E3C: 85458045
	buffer_load_dwordx4 v[108:111], v190, s[16:19], 0 offen    // 000000003E40: E05C1000 80046CBE
	v_mfma_scale_f32_16x16x128_f8f6f4 a[32:35], v[160:163], v[64:67], a[32:35], v177, v171 op_sel_hi:[0,0,0] cbsz:4 blgp:4// 000000003E48: D3AC6000 180357B1 D3AD8C20 848281A0
	ds_read_b128 v[28:31], v180 offset:512                     // 000000003E58: D9FE0200 1C0000B4
	v_mfma_scale_f32_16x16x128_f8f6f4 a[36:39], v[160:163], v[68:71], a[36:39], v177, v171 op_sel_hi:[0,0,0] cbsz:4 blgp:4// 000000003E60: D3AC7000 180357B1 D3AD8C24 849289A0
	buffer_load_dwordx4 v[112:115], v189, s[16:19], 0 offen offset:1024// 000000003E70: E05C1400 800470BD
	v_mfma_scale_f32_16x16x128_f8f6f4 a[40:43], v[164:167], v[64:67], a[40:43], v177, v171 op_sel_hi:[0,0,0] cbsz:4 blgp:4// 000000003E78: D3AC6800 180357B1 D3AD8C28 84A281A4
	ds_read_b128 v[36:39], v180 offset:576                     // 000000003E88: D9FE0240 240000B4
	v_mfma_scale_f32_16x16x128_f8f6f4 a[44:47], v[164:167], v[68:71], a[44:47], v177, v171 op_sel_hi:[0,0,0] cbsz:4 blgp:4// 000000003E90: D3AC7800 180357B1 D3AD8C2C 84B289A4
	buffer_load_dwordx4 v[116:119], v190, s[16:19], 0 offen offset:1024// 000000003EA0: E05C1400 800474BE
	ds_read_b32 v169, v184 offset:1024                         // 000000003EA8: D86C0400 A90000B8
	buffer_load_dword v174, v193, s[24:27], 0 offen            // 000000003EB0: E0501000 8006AEC1
	s_add_u32 s16, s16, s67                                    // 000000003EB8: 80104310
	s_addc_u32 s17, 0, s17                                     // 000000003EBC: 82111180
	s_sub_u32 s18, s18, s67                                    // 000000003EC0: 80924312
	s_add_u32 s24, s24, s69                                    // 000000003EC4: 80184518
	s_addc_u32 s25, 0, s25                                     // 000000003EC8: 82191980
	s_sub_u32 s26, s26, s69                                    // 000000003ECC: 809A451A
	s_addk_i32 s60, 0x100                                      // 000000003ED0: B73C0100
	s_cmp_lt_i32 s60, s61                                      // 000000003ED4: BF043D3C
	s_cbranch_scc0 label_076B                                  // 000000003ED8: BF8402B4
	s_branch label_0205                                        // 000000003EDC: BF82FD4D

0000000000003ee0 <label_04B8>:
	s_waitcnt vmcnt(10) lgkmcnt(5)                             // 000000003EE0: BF8C057A
	v_mfma_scale_f32_16x16x128_f8f6f4 a[0:3], v[72:75], v[8:11], a[0:3], v172, v168 op_sel_hi:[0,0,0] cbsz:4 blgp:4// 000000003EE4: D3AC6000 000351AC D3AD8C00 84021148
	s_add_u32 m0, 0x800, s65                                   // 000000003EF4: 807C41FF 00000800
	buffer_load_dword v183, s[20:23], 0 offen lds              // 000000003EFC: E0511000 800500B7
	v_mfma_scale_f32_16x16x128_f8f6f4 a[4:7], v[72:75], v[12:15], a[4:7], v172, v168 op_sel_hi:[0,0,0] cbsz:4 blgp:4// 000000003F04: D3AC7000 000351AC D3AD8C04 84121948
	v_mfma_scale_f32_16x16x128_f8f6f4 a[8:11], v[76:79], v[8:11], a[8:11], v172, v168 op_sel_hi:[0,0,0] cbsz:4 blgp:4// 000000003F14: D3AC6800 000351AC D3AD8C08 8422114C
	s_add_u32 m0, 0x2100, s64                                  // 000000003F24: 807C40FF 00002100
	buffer_load_dwordx4 v178, s[12:15], 0 offen lds            // 000000003F2C: E05D1000 800300B2
	v_mfma_scale_f32_16x16x128_f8f6f4 a[12:15], v[76:79], v[12:15], a[12:15], v172, v168 op_sel_hi:[0,0,0] cbsz:4 blgp:4// 000000003F34: D3AC7800 000351AC D3AD8C0C 8432194C
	s_add_u32 s62, 0x300, s60                                  // 000000003F44: 803E3CFF 00000300
	s_cmp_lt_u32 s62, s61                                      // 000000003F4C: BF0A3D3E
	v_mfma_scale_f32_16x16x128_f8f6f4 a[0:3], v[80:83], v[16:19], a[0:3], v172, v168 op_sel_hi:[0,0,0] cbsz:4 blgp:4// 000000003F50: D3AC6000 180351AC D3AD8C00 84022150
	s_cselect_b32 s66, s66, 0                                  // 000000003F60: 85428042
	buffer_load_dwordx4 v[120:123], v185, s[16:19], 0 offen    // 000000003F64: E05C1000 800478B9
	v_mfma_scale_f32_16x16x128_f8f6f4 a[4:7], v[80:83], v[20:23], a[4:7], v172, v168 op_sel_hi:[0,0,0] cbsz:4 blgp:4// 000000003F6C: D3AC1000 180351AC D3AD8C04 84122950
	s_cselect_b32 s68, s68, 0                                  // 000000003F7C: 85448044
	s_add_u32 s12, s12, s66                                    // 000000003F80: 800C420C
	v_mfma_scale_f32_16x16x128_f8f6f4 a[8:11], v[84:87], v[16:19], a[8:11], v172, v168 op_sel_hi:[0,0,0] cbsz:4 blgp:4// 000000003F84: D3AC0800 180351AC D3AD8C08 84222154
	s_addc_u32 s13, 0, s13                                     // 000000003F94: 820D0D80
	buffer_load_dwordx4 v[124:127], v186, s[16:19], 0 offen    // 000000003F98: E05C1000 80047CBA
	v_mfma_scale_f32_16x16x128_f8f6f4 a[12:15], v[84:87], v[20:23], a[12:15], v172, v168 op_sel_hi:[0,0,0] cbsz:4 blgp:4// 000000003FA0: D3AC1800 180351AC D3AD8C0C 84322954
	s_sub_u32 s14, s14, s66                                    // 000000003FB0: 808E420E
	s_add_u32 s20, s20, s68                                    // 000000003FB4: 80144414
	s_addc_u32 s21, 0, s21                                     // 000000003FB8: 82151580
	buffer_load_dwordx4 v[128:131], v185, s[16:19], 0 offen offset:1024// 000000003FBC: E05C1400 800480B9
	s_sub_u32 s22, s22, s68                                    // 000000003FC4: 80964416
	buffer_load_dwordx4 v[132:135], v186, s[16:19], 0 offen offset:1024// 000000003FC8: E05C1400 800484BA
	buffer_load_dword v175, v191, s[24:27], 0 offen            // 000000003FD0: E0501000 8006AFBF
	s_waitcnt vmcnt(12)                                        // 000000003FD8: BF8C0F7C
	v_mfma_scale_f32_16x16x128_f8f6f4 a[16:19], v[88:91], v[8:11], a[16:19], v173, v168 op_sel_hi:[0,0,0] cbsz:4 blgp:4// 000000003FDC: D3AC6000 000351AD D3AD8C10 84421158
	buffer_load_dwordx4 v[136:139], v187, s[16:19], 0 offen    // 000000003FEC: E05C1000 800488BB
	v_mfma_scale_f32_16x16x128_f8f6f4 a[20:23], v[88:91], v[12:15], a[20:23], v173, v168 op_sel_hi:[0,0,0] cbsz:4 blgp:4// 000000003FF4: D3AC7000 000351AD D3AD8C14 84521958
	v_mfma_scale_f32_16x16x128_f8f6f4 a[24:27], v[92:95], v[8:11], a[24:27], v173, v168 op_sel_hi:[0,0,0] cbsz:4 blgp:4// 000000004004: D3AC6800 000351AD D3AD8C18 8462115C
	buffer_load_dwordx4 v[140:143], v188, s[16:19], 0 offen    // 000000004014: E05C1000 80048CBC
	v_mfma_scale_f32_16x16x128_f8f6f4 a[28:31], v[92:95], v[12:15], a[28:31], v173, v168 op_sel_hi:[0,0,0] cbsz:4 blgp:4// 00000000401C: D3AC7800 000351AD D3AD8C1C 8472195C
	v_mfma_scale_f32_16x16x128_f8f6f4 a[16:19], v[96:99], v[16:19], a[16:19], v173, v168 op_sel_hi:[0,0,0] cbsz:4 blgp:4// 00000000402C: D3AC6000 180351AD D3AD8C10 84422160
	buffer_load_dwordx4 v[144:147], v187, s[16:19], 0 offen offset:1024// 00000000403C: E05C1400 800490BB
	v_mfma_scale_f32_16x16x128_f8f6f4 a[20:23], v[96:99], v[20:23], a[20:23], v173, v168 op_sel_hi:[0,0,0] cbsz:4 blgp:4// 000000004044: D3AC7000 180351AD D3AD8C14 84522960
	v_mfma_scale_f32_16x16x128_f8f6f4 a[24:27], v[100:103], v[16:19], a[24:27], v173, v168 op_sel_hi:[0,0,0] cbsz:4 blgp:4// 000000004054: D3AC6800 180351AD D3AD8C18 84622164
	buffer_load_dwordx4 v[148:151], v188, s[16:19], 0 offen offset:1024// 000000004064: E05C1400 800494BC
	v_mfma_scale_f32_16x16x128_f8f6f4 a[28:31], v[100:103], v[20:23], a[28:31], v173, v168 op_sel_hi:[0,0,0] cbsz:4 blgp:4// 00000000406C: D3AC7800 180351AD D3AD8C1C 84722964
	buffer_load_dword v176, v192, s[24:27], 0 offen            // 00000000407C: E0501000 8006B0C0
	s_waitcnt vmcnt(10)                                        // 000000004084: BF8C0F7A
	s_barrier                                                  // 000000004088: BF8A0000
	v_mfma_scale_f32_16x16x128_f8f6f4 a[32:35], v[104:107], v[8:11], a[32:35], v174, v168 op_sel_hi:[0,0,0] cbsz:4 blgp:4// 00000000408C: D3AC6000 000351AE D3AD8C20 84821168
	s_add_u32 s63, 0x200, s60                                  // 00000000409C: 803F3CFF 00000200
	buffer_load_dwordx4 v[152:155], v189, s[16:19], 0 offen    // 0000000040A4: E05C1000 800498BD
	v_mfma_scale_f32_16x16x128_f8f6f4 a[36:39], v[104:107], v[12:15], a[36:39], v174, v168 op_sel_hi:[0,0,0] cbsz:4 blgp:4// 0000000040AC: D3AC7000 000351AE D3AD8C24 84921968
	s_cmp_lt_u32 s63, s61                                      // 0000000040BC: BF0A3D3F
	ds_read_b128 v[40:43], v181                                // 0000000040C0: D9FE0000 280000B5
	v_mfma_scale_f32_16x16x128_f8f6f4 a[40:43], v[108:111], v[8:11], a[40:43], v174, v168 op_sel_hi:[0,0,0] cbsz:4 blgp:4// 0000000040C8: D3AC6800 000351AE D3AD8C28 84A2116C
	s_cselect_b32 s67, s67, 0                                  // 0000000040D8: 85438043
	buffer_load_dwordx4 v[156:159], v190, s[16:19], 0 offen    // 0000000040DC: E05C1000 80049CBE
	v_mfma_scale_f32_16x16x128_f8f6f4 a[44:47], v[108:111], v[12:15], a[44:47], v174, v168 op_sel_hi:[0,0,0] cbsz:4 blgp:4// 0000000040E4: D3AC7800 000351AE D3AD8C2C 84B2196C
	s_cselect_b32 s69, s69, 0                                  // 0000000040F4: 85458045
	ds_read_b128 v[48:51], v181 offset:64                      // 0000000040F8: D9FE0040 300000B5
	v_mfma_scale_f32_16x16x128_f8f6f4 a[32:35], v[112:115], v[16:19], a[32:35], v174, v168 op_sel_hi:[0,0,0] cbsz:4 blgp:4// 000000004100: D3AC6000 180351AE D3AD8C20 84822170
	buffer_load_dwordx4 v[160:163], v189, s[16:19], 0 offen offset:1024// 000000004110: E05C1400 8004A0BD
	v_mfma_scale_f32_16x16x128_f8f6f4 a[36:39], v[112:115], v[20:23], a[36:39], v174, v168 op_sel_hi:[0,0,0] cbsz:4 blgp:4// 000000004118: D3AC7000 180351AE D3AD8C24 84922970
	ds_read_b128 v[44:47], v181 offset:512                     // 000000004128: D9FE0200 2C0000B5
	v_mfma_scale_f32_16x16x128_f8f6f4 a[40:43], v[116:119], v[16:19], a[40:43], v174, v168 op_sel_hi:[0,0,0] cbsz:4 blgp:4// 000000004130: D3AC6800 180351AE D3AD8C28 84A22174
	buffer_load_dwordx4 v[164:167], v190, s[16:19], 0 offen offset:1024// 000000004140: E05C1400 8004A4BE
	v_mfma_scale_f32_16x16x128_f8f6f4 a[44:47], v[116:119], v[20:23], a[44:47], v174, v168 op_sel_hi:[0,0,0] cbsz:4 blgp:4// 000000004148: D3AC7800 180351AE D3AD8C2C 84B22974
	ds_read_b128 v[52:55], v181 offset:576                     // 000000004158: D9FE0240 340000B5
	ds_read_b32 v170, v184 offset:2048                         // 000000004160: D86C0800 AA0000B8
	buffer_load_dword v177, v193, s[24:27], 0 offen            // 000000004168: E0501000 8006B1C1
	s_add_u32 s16, s16, s67                                    // 000000004170: 80104310
	s_addc_u32 s17, 0, s17                                     // 000000004174: 82111180
	s_sub_u32 s18, s18, s67                                    // 000000004178: 80924312
	s_add_u32 s24, s24, s69                                    // 00000000417C: 80184518
	s_addc_u32 s25, 0, s25                                     // 000000004180: 82191980
	s_sub_u32 s26, s26, s69                                    // 000000004184: 809A451A
	s_addk_i32 s60, 0x100                                      // 000000004188: B73C0100
	s_cmp_lt_i32 s60, s61                                      // 00000000418C: BF043D3C
	s_cbranch_scc0 label_076B                                  // 000000004190: BF840206
	s_waitcnt vmcnt(10) lgkmcnt(5)                             // 000000004194: BF8C057A
	v_mfma_scale_f32_16x16x128_f8f6f4 a[0:3], v[120:123], v[24:27], a[0:3], v175, v169 op_sel_hi:[0,0,0] cbsz:4 blgp:4// 000000004198: D3AC6000 000353AF D3AD8C00 84023178
	s_add_u32 m0, 0xc00, s65                                   // 0000000041A8: 807C41FF 00000C00
	buffer_load_dword v183, s[20:23], 0 offen lds              // 0000000041B0: E0511000 800500B7
	v_mfma_scale_f32_16x16x128_f8f6f4 a[4:7], v[120:123], v[28:31], a[4:7], v175, v169 op_sel_hi:[0,0,0] cbsz:4 blgp:4// 0000000041B8: D3AC7000 000353AF D3AD8C04 84123978
	v_mfma_scale_f32_16x16x128_f8f6f4 a[8:11], v[124:127], v[24:27], a[8:11], v175, v169 op_sel_hi:[0,0,0] cbsz:4 blgp:4// 0000000041C8: D3AC6800 000353AF D3AD8C08 8422317C
	s_add_u32 m0, 0x3180, s64                                  // 0000000041D8: 807C40FF 00003180
	buffer_load_dwordx4 v178, s[12:15], 0 offen lds            // 0000000041E0: E05D1000 800300B2
	v_mfma_scale_f32_16x16x128_f8f6f4 a[12:15], v[124:127], v[28:31], a[12:15], v175, v169 op_sel_hi:[0,0,0] cbsz:4 blgp:4// 0000000041E8: D3AC7800 000353AF D3AD8C0C 8432397C
	s_add_u32 s62, 0x300, s60                                  // 0000000041F8: 803E3CFF 00000300
	s_cmp_lt_u32 s62, s61                                      // 000000004200: BF0A3D3E
	v_mfma_scale_f32_16x16x128_f8f6f4 a[0:3], v[128:131], v[32:35], a[0:3], v175, v169 op_sel_hi:[0,0,0] cbsz:4 blgp:4// 000000004204: D3AC6000 180353AF D3AD8C00 84024180
	s_cselect_b32 s66, s66, 0                                  // 000000004214: 85428042
	buffer_load_dwordx4 v[72:75], v185, s[16:19], 0 offen      // 000000004218: E05C1000 800448B9
	v_mfma_scale_f32_16x16x128_f8f6f4 a[4:7], v[128:131], v[36:39], a[4:7], v175, v169 op_sel_hi:[0,0,0] cbsz:4 blgp:4// 000000004220: D3AC7000 180353AF D3AD8C04 84124980
	s_cselect_b32 s68, s68, 0                                  // 000000004230: 85448044
	s_add_u32 s12, s12, s66                                    // 000000004234: 800C420C
	v_mfma_scale_f32_16x16x128_f8f6f4 a[8:11], v[132:135], v[32:35], a[8:11], v175, v169 op_sel_hi:[0,0,0] cbsz:4 blgp:4// 000000004238: D3AC6800 180353AF D3AD8C08 84224184
	s_addc_u32 s13, 0, s13                                     // 000000004248: 820D0D80
	buffer_load_dwordx4 v[76:79], v186, s[16:19], 0 offen      // 00000000424C: E05C1000 80044CBA
	v_mfma_scale_f32_16x16x128_f8f6f4 a[12:15], v[132:135], v[36:39], a[12:15], v175, v169 op_sel_hi:[0,0,0] cbsz:4 blgp:4// 000000004254: D3AC7800 180353AF D3AD8C0C 84324984
	s_sub_u32 s14, s14, s66                                    // 000000004264: 808E420E
	s_add_u32 s20, s20, s68                                    // 000000004268: 80144414
	s_addc_u32 s21, 0, s21                                     // 00000000426C: 82151580
	buffer_load_dwordx4 v[80:83], v185, s[16:19], 0 offen offset:1024// 000000004270: E05C1400 800450B9
	s_sub_u32 s22, s22, s68                                    // 000000004278: 80964416
	buffer_load_dwordx4 v[84:87], v186, s[16:19], 0 offen offset:1024// 00000000427C: E05C1400 800454BA
	buffer_load_dword v172, v191, s[24:27], 0 offen            // 000000004284: E0501000 8006ACBF
	s_waitcnt vmcnt(12)                                        // 00000000428C: BF8C0F7C
	v_mfma_scale_f32_16x16x128_f8f6f4 a[16:19], v[136:139], v[24:27], a[16:19], v176, v169 op_sel_hi:[0,0,0] cbsz:4 blgp:4// 000000004290: D3AC6000 000353B0 D3AD8C10 84423188
	buffer_load_dwordx4 v[88:91], v187, s[16:19], 0 offen      // 0000000042A0: E05C1000 800458BB
	v_mfma_scale_f32_16x16x128_f8f6f4 a[20:23], v[136:139], v[28:31], a[20:23], v176, v169 op_sel_hi:[0,0,0] cbsz:4 blgp:4// 0000000042A8: D3AC7000 000353B0 D3AD8C14 84523988
	v_mfma_scale_f32_16x16x128_f8f6f4 a[24:27], v[140:143], v[24:27], a[24:27], v176, v169 op_sel_hi:[0,0,0] cbsz:4 blgp:4// 0000000042B8: D3AC6800 000353B0 D3AD8C18 8462318C
	buffer_load_dwordx4 v[92:95], v188, s[16:19], 0 offen      // 0000000042C8: E05C1000 80045CBC
	v_mfma_scale_f32_16x16x128_f8f6f4 a[28:31], v[140:143], v[28:31], a[28:31], v176, v169 op_sel_hi:[0,0,0] cbsz:4 blgp:4// 0000000042D0: D3AC7800 000353B0 D3AD8C1C 8472398C
	v_mfma_scale_f32_16x16x128_f8f6f4 a[16:19], v[144:147], v[32:35], a[16:19], v176, v169 op_sel_hi:[0,0,0] cbsz:4 blgp:4// 0000000042E0: D3AC6000 180353B0 D3AD8C10 84424190
	buffer_load_dwordx4 v[96:99], v187, s[16:19], 0 offen offset:1024// 0000000042F0: E05C1400 800460BB
	v_mfma_scale_f32_16x16x128_f8f6f4 a[20:23], v[144:147], v[36:39], a[20:23], v176, v169 op_sel_hi:[0,0,0] cbsz:4 blgp:4// 0000000042F8: D3AC7000 180353B0 D3AD8C14 84524990
	v_mfma_scale_f32_16x16x128_f8f6f4 a[24:27], v[148:151], v[32:35], a[24:27], v176, v169 op_sel_hi:[0,0,0] cbsz:4 blgp:4// 000000004308: D3AC6800 180353B0 D3AD8C18 84624194
	buffer_load_dwordx4 v[100:103], v188, s[16:19], 0 offen offset:1024// 000000004318: E05C1400 800464BC
	v_mfma_scale_f32_16x16x128_f8f6f4 a[28:31], v[148:151], v[36:39], a[28:31], v176, v169 op_sel_hi:[0,0,0] cbsz:4 blgp:4// 000000004320: D3AC7800 180353B0 D3AD8C1C 84724994
	buffer_load_dword v173, v192, s[24:27], 0 offen            // 000000004330: E0501000 8006ADC0
	s_waitcnt vmcnt(10)                                        // 000000004338: BF8C0F7A
	s_barrier                                                  // 00000000433C: BF8A0000
	v_mfma_scale_f32_16x16x128_f8f6f4 a[32:35], v[152:155], v[24:27], a[32:35], v177, v169 op_sel_hi:[0,0,0] cbsz:4 blgp:4// 000000004340: D3AC6000 000353B1 D3AD8C20 84823198
	s_add_u32 s63, 0x200, s60                                  // 000000004350: 803F3CFF 00000200
	buffer_load_dwordx4 v[104:107], v189, s[16:19], 0 offen    // 000000004358: E05C1000 800468BD
	v_mfma_scale_f32_16x16x128_f8f6f4 a[36:39], v[152:155], v[28:31], a[36:39], v177, v169 op_sel_hi:[0,0,0] cbsz:4 blgp:4// 000000004360: D3AC7000 000353B1 D3AD8C24 84923998
	s_cmp_lt_u32 s63, s61                                      // 000000004370: BF0A3D3F
	ds_read_b128 v[56:59], v182                                // 000000004374: D9FE0000 380000B6
	v_mfma_scale_f32_16x16x128_f8f6f4 a[40:43], v[156:159], v[24:27], a[40:43], v177, v169 op_sel_hi:[0,0,0] cbsz:4 blgp:4// 00000000437C: D3AC6800 000353B1 D3AD8C28 84A2319C
	s_cselect_b32 s67, s67, 0                                  // 00000000438C: 85438043
	buffer_load_dwordx4 v[108:111], v190, s[16:19], 0 offen    // 000000004390: E05C1000 80046CBE
	v_mfma_scale_f32_16x16x128_f8f6f4 a[44:47], v[156:159], v[28:31], a[44:47], v177, v169 op_sel_hi:[0,0,0] cbsz:4 blgp:4// 000000004398: D3AC7800 000353B1 D3AD8C2C 84B2399C
	s_cselect_b32 s69, s69, 0                                  // 0000000043A8: 85458045
	ds_read_b128 v[64:67], v182 offset:64                      // 0000000043AC: D9FE0040 400000B6
	v_mfma_scale_f32_16x16x128_f8f6f4 a[32:35], v[160:163], v[32:35], a[32:35], v177, v169 op_sel_hi:[0,0,0] cbsz:4 blgp:4// 0000000043B4: D3AC6000 180353B1 D3AD8C20 848241A0
	buffer_load_dwordx4 v[112:115], v189, s[16:19], 0 offen offset:1024// 0000000043C4: E05C1400 800470BD
	v_mfma_scale_f32_16x16x128_f8f6f4 a[36:39], v[160:163], v[36:39], a[36:39], v177, v169 op_sel_hi:[0,0,0] cbsz:4 blgp:4// 0000000043CC: D3AC7000 180353B1 D3AD8C24 849249A0
	ds_read_b128 v[60:63], v182 offset:512                     // 0000000043DC: D9FE0200 3C0000B6
	v_mfma_scale_f32_16x16x128_f8f6f4 a[40:43], v[164:167], v[32:35], a[40:43], v177, v169 op_sel_hi:[0,0,0] cbsz:4 blgp:4// 0000000043E4: D3AC6800 180353B1 D3AD8C28 84A241A4
	buffer_load_dwordx4 v[116:119], v190, s[16:19], 0 offen offset:1024// 0000000043F4: E05C1400 800474BE
	v_mfma_scale_f32_16x16x128_f8f6f4 a[44:47], v[164:167], v[36:39], a[44:47], v177, v169 op_sel_hi:[0,0,0] cbsz:4 blgp:4// 0000000043FC: D3AC7800 180353B1 D3AD8C2C 84B249A4
	ds_read_b128 v[68:71], v182 offset:576                     // 00000000440C: D9FE0240 440000B6
	ds_read_b32 v171, v184 offset:3072                         // 000000004414: D86C0C00 AB0000B8
	buffer_load_dword v174, v193, s[24:27], 0 offen            // 00000000441C: E0501000 8006AEC1
	s_add_u32 s16, s16, s67                                    // 000000004424: 80104310
	s_addc_u32 s17, 0, s17                                     // 000000004428: 82111180
	s_sub_u32 s18, s18, s67                                    // 00000000442C: 80924312
	s_add_u32 s24, s24, s69                                    // 000000004430: 80184518
	s_addc_u32 s25, 0, s25                                     // 000000004434: 82191980
	s_sub_u32 s26, s26, s69                                    // 000000004438: 809A451A
	s_addk_i32 s60, 0x100                                      // 00000000443C: B73C0100
	s_cmp_lt_i32 s60, s61                                      // 000000004440: BF043D3C
	s_cbranch_scc0 label_076B                                  // 000000004444: BF840159
	s_waitcnt vmcnt(10) lgkmcnt(5)                             // 000000004448: BF8C057A
	v_mfma_scale_f32_16x16x128_f8f6f4 a[0:3], v[72:75], v[40:43], a[0:3], v172, v170 op_sel_hi:[0,0,0] cbsz:4 blgp:4// 00000000444C: D3AC6000 000355AC D3AD8C00 84025148
	s_add_u32 m0, 0, s65                                       // 00000000445C: 807C4180
	buffer_load_dword v183, s[20:23], 0 offen lds              // 000000004460: E0511000 800500B7
	v_mfma_scale_f32_16x16x128_f8f6f4 a[4:7], v[72:75], v[44:47], a[4:7], v172, v170 op_sel_hi:[0,0,0] cbsz:4 blgp:4// 000000004468: D3AC7000 000355AC D3AD8C04 84125948
	v_mfma_scale_f32_16x16x128_f8f6f4 a[8:11], v[76:79], v[40:43], a[8:11], v172, v170 op_sel_hi:[0,0,0] cbsz:4 blgp:4// 000000004478: D3AC6800 000355AC D3AD8C08 8422514C
	s_add_u32 m0, 0, s64                                       // 000000004488: 807C4080
	buffer_load_dwordx4 v178, s[12:15], 0 offen lds            // 00000000448C: E05D1000 800300B2
	v_mfma_scale_f32_16x16x128_f8f6f4 a[12:15], v[76:79], v[44:47], a[12:15], v172, v170 op_sel_hi:[0,0,0] cbsz:4 blgp:4// 000000004494: D3AC7800 000355AC D3AD8C0C 8432594C
	s_add_u32 s62, 0x300, s60                                  // 0000000044A4: 803E3CFF 00000300
	s_cmp_lt_u32 s62, s61                                      // 0000000044AC: BF0A3D3E
	v_mfma_scale_f32_16x16x128_f8f6f4 a[0:3], v[80:83], v[48:51], a[0:3], v172, v170 op_sel_hi:[0,0,0] cbsz:4 blgp:4// 0000000044B0: D3AC6000 180355AC D3AD8C00 84026150
	s_cselect_b32 s66, s66, 0                                  // 0000000044C0: 85428042
	buffer_load_dwordx4 v[120:123], v185, s[16:19], 0 offen    // 0000000044C4: E05C1000 800478B9
	v_mfma_scale_f32_16x16x128_f8f6f4 a[4:7], v[80:83], v[52:55], a[4:7], v172, v170 op_sel_hi:[0,0,0] cbsz:4 blgp:4// 0000000044CC: D3AC7000 180355AC D3AD8C04 84126950
	s_cselect_b32 s68, s68, 0                                  // 0000000044DC: 85448044
	s_add_u32 s12, s12, s66                                    // 0000000044E0: 800C420C
	v_mfma_scale_f32_16x16x128_f8f6f4 a[8:11], v[84:87], v[48:51], a[8:11], v172, v170 op_sel_hi:[0,0,0] cbsz:4 blgp:4// 0000000044E4: D3AC6800 180355AC D3AD8C08 84226154
	s_addc_u32 s13, 0, s13                                     // 0000000044F4: 820D0D80
	buffer_load_dwordx4 v[124:127], v186, s[16:19], 0 offen    // 0000000044F8: E05C1000 80047CBA
	v_mfma_scale_f32_16x16x128_f8f6f4 a[12:15], v[84:87], v[52:55], a[12:15], v172, v170 op_sel_hi:[0,0,0] cbsz:4 blgp:4// 000000004500: D3AC7800 180355AC D3AD8C0C 84326954
	s_sub_u32 s14, s14, s66                                    // 000000004510: 808E420E
	s_add_u32 s20, s20, s68                                    // 000000004514: 80144414
	s_addc_u32 s21, 0, s21                                     // 000000004518: 82151580
	buffer_load_dwordx4 v[128:131], v185, s[16:19], 0 offen offset:1024// 00000000451C: E05C1400 800480B9
	s_sub_u32 s22, s22, s68                                    // 000000004524: 80964416
	buffer_load_dwordx4 v[132:135], v186, s[16:19], 0 offen offset:1024// 000000004528: E05C1400 800484BA
	buffer_load_dword v175, v191, s[24:27], 0 offen            // 000000004530: E0501000 8006AFBF
	s_waitcnt vmcnt(12)                                        // 000000004538: BF8C0F7C
	v_mfma_scale_f32_16x16x128_f8f6f4 a[16:19], v[88:91], v[40:43], a[16:19], v173, v170 op_sel_hi:[0,0,0] cbsz:4 blgp:4// 00000000453C: D3AC6000 000355AD D3AD8C10 84425158
	buffer_load_dwordx4 v[136:139], v187, s[16:19], 0 offen    // 00000000454C: E05C1000 800488BB
	v_mfma_scale_f32_16x16x128_f8f6f4 a[20:23], v[88:91], v[44:47], a[20:23], v173, v170 op_sel_hi:[0,0,0] cbsz:4 blgp:4// 000000004554: D3AC7000 000355AD D3AD8C14 84525958
	v_mfma_scale_f32_16x16x128_f8f6f4 a[24:27], v[92:95], v[40:43], a[24:27], v173, v170 op_sel_hi:[0,0,0] cbsz:4 blgp:4// 000000004564: D3AC6800 000355AD D3AD8C18 8462515C
	buffer_load_dwordx4 v[140:143], v188, s[16:19], 0 offen    // 000000004574: E05C1000 80048CBC
	v_mfma_scale_f32_16x16x128_f8f6f4 a[28:31], v[92:95], v[44:47], a[28:31], v173, v170 op_sel_hi:[0,0,0] cbsz:4 blgp:4// 00000000457C: D3AC7800 000355AD D3AD8C1C 8472595C
	v_mfma_scale_f32_16x16x128_f8f6f4 a[16:19], v[96:99], v[48:51], a[16:19], v173, v170 op_sel_hi:[0,0,0] cbsz:4 blgp:4// 00000000458C: D3AC6000 180355AD D3AD8C10 84426160
	buffer_load_dwordx4 v[144:147], v187, s[16:19], 0 offen offset:1024// 00000000459C: E05C1400 800490BB
	v_mfma_scale_f32_16x16x128_f8f6f4 a[20:23], v[96:99], v[52:55], a[20:23], v173, v170 op_sel_hi:[0,0,0] cbsz:4 blgp:4// 0000000045A4: D3AC7000 180355AD D3AD8C14 84526960
	v_mfma_scale_f32_16x16x128_f8f6f4 a[24:27], v[100:103], v[48:51], a[24:27], v173, v170 op_sel_hi:[0,0,0] cbsz:4 blgp:4// 0000000045B4: D3AC6800 180355AD D3AD8C18 84626164
	buffer_load_dwordx4 v[148:151], v188, s[16:19], 0 offen offset:1024// 0000000045C4: E05C1400 800494BC
	v_mfma_scale_f32_16x16x128_f8f6f4 a[28:31], v[100:103], v[52:55], a[28:31], v173, v170 op_sel_hi:[0,0,0] cbsz:4 blgp:4// 0000000045CC: D3AC7800 180355AD D3AD8C1C 84726964
	buffer_load_dword v176, v192, s[24:27], 0 offen            // 0000000045DC: E0501000 8006B0C0
	s_waitcnt vmcnt(10)                                        // 0000000045E4: BF8C0F7A
	s_barrier                                                  // 0000000045E8: BF8A0000
	v_mfma_scale_f32_16x16x128_f8f6f4 a[32:35], v[104:107], v[40:43], a[32:35], v174, v170 op_sel_hi:[0,0,0] cbsz:4 blgp:4// 0000000045EC: D3AC6000 000355AE D3AD8C20 84825168
	s_add_u32 s63, 0x200, s60                                  // 0000000045FC: 803F3CFF 00000200
	buffer_load_dwordx4 v[152:155], v189, s[16:19], 0 offen    // 000000004604: E05C1000 800498BD
	v_mfma_scale_f32_16x16x128_f8f6f4 a[36:39], v[104:107], v[44:47], a[36:39], v174, v170 op_sel_hi:[0,0,0] cbsz:4 blgp:4// 00000000460C: D3AC7000 000355AE D3AD8C24 84925968
	s_cmp_lt_u32 s63, s61                                      // 00000000461C: BF0A3D3F
	ds_read_b128 v[8:11], v179                                 // 000000004620: D9FE0000 080000B3
	v_mfma_scale_f32_16x16x128_f8f6f4 a[40:43], v[108:111], v[40:43], a[40:43], v174, v170 op_sel_hi:[0,0,0] cbsz:4 blgp:4// 000000004628: D3AC6800 000355AE D3AD8C28 84A2516C
	s_cselect_b32 s67, s67, 0                                  // 000000004638: 85438043
	buffer_load_dwordx4 v[156:159], v190, s[16:19], 0 offen    // 00000000463C: E05C1000 80049CBE
	v_mfma_scale_f32_16x16x128_f8f6f4 a[44:47], v[108:111], v[44:47], a[44:47], v174, v170 op_sel_hi:[0,0,0] cbsz:4 blgp:4// 000000004644: D3AC7800 000355AE D3AD8C2C 84B2596C
	s_cselect_b32 s69, s69, 0                                  // 000000004654: 85458045
	ds_read_b128 v[16:19], v179 offset:64                      // 000000004658: D9FE0040 100000B3
	v_mfma_scale_f32_16x16x128_f8f6f4 a[32:35], v[112:115], v[48:51], a[32:35], v174, v170 op_sel_hi:[0,0,0] cbsz:4 blgp:4// 000000004660: D3AC6000 180355AE D3AD8C20 84826170
	buffer_load_dwordx4 v[160:163], v189, s[16:19], 0 offen offset:1024// 000000004670: E05C1400 8004A0BD
	v_mfma_scale_f32_16x16x128_f8f6f4 a[36:39], v[112:115], v[52:55], a[36:39], v174, v170 op_sel_hi:[0,0,0] cbsz:4 blgp:4// 000000004678: D3AC7000 180355AE D3AD8C24 84926970
	ds_read_b128 v[12:15], v179 offset:512                     // 000000004688: D9FE0200 0C0000B3
	v_mfma_scale_f32_16x16x128_f8f6f4 a[40:43], v[116:119], v[48:51], a[40:43], v174, v170 op_sel_hi:[0,0,0] cbsz:4 blgp:4// 000000004690: D3AC6800 180355AE D3AD8C28 84A26174
	buffer_load_dwordx4 v[164:167], v190, s[16:19], 0 offen offset:1024// 0000000046A0: E05C1400 8004A4BE
	v_mfma_scale_f32_16x16x128_f8f6f4 a[44:47], v[116:119], v[52:55], a[44:47], v174, v170 op_sel_hi:[0,0,0] cbsz:4 blgp:4// 0000000046A8: D3AC7800 180355AE D3AD8C2C 84B26974
	ds_read_b128 v[20:23], v179 offset:576                     // 0000000046B8: D9FE0240 140000B3
	ds_read_b32 v168, v184                                     // 0000000046C0: D86C0000 A80000B8
	buffer_load_dword v177, v193, s[24:27], 0 offen            // 0000000046C8: E0501000 8006B1C1
	s_add_u32 s16, s16, s67                                    // 0000000046D0: 80104310
	s_addc_u32 s17, 0, s17                                     // 0000000046D4: 82111180
	s_sub_u32 s18, s18, s67                                    // 0000000046D8: 80924312
	s_add_u32 s24, s24, s69                                    // 0000000046DC: 80184518
	s_addc_u32 s25, 0, s25                                     // 0000000046E0: 82191980
	s_sub_u32 s26, s26, s69                                    // 0000000046E4: 809A451A
	s_addk_i32 s60, 0x100                                      // 0000000046E8: B73C0100
	s_cmp_lt_i32 s60, s61                                      // 0000000046EC: BF043D3C
	s_cbranch_scc0 label_076B                                  // 0000000046F0: BF8400AE
	s_waitcnt vmcnt(10) lgkmcnt(5)                             // 0000000046F4: BF8C057A
	v_mfma_scale_f32_16x16x128_f8f6f4 a[0:3], v[120:123], v[56:59], a[0:3], v175, v171 op_sel_hi:[0,0,0] cbsz:4 blgp:4// 0000000046F8: D3AC6000 000357AF D3AD8C00 84027178
	s_add_u32 m0, 0x400, s65                                   // 000000004708: 807C41FF 00000400
	buffer_load_dword v183, s[20:23], 0 offen lds              // 000000004710: E0511000 800500B7
	v_mfma_scale_f32_16x16x128_f8f6f4 a[4:7], v[120:123], v[60:63], a[4:7], v175, v171 op_sel_hi:[0,0,0] cbsz:4 blgp:4// 000000004718: D3AC7000 000357AF D3AD8C04 84127978
	v_mfma_scale_f32_16x16x128_f8f6f4 a[8:11], v[124:127], v[56:59], a[8:11], v175, v171 op_sel_hi:[0,0,0] cbsz:4 blgp:4// 000000004728: D3AC6800 000357AF D3AD8C08 8422717C
	s_add_u32 m0, 0x1080, s64                                  // 000000004738: 807C40FF 00001080
	buffer_load_dwordx4 v178, s[12:15], 0 offen lds            // 000000004740: E05D1000 800300B2
	v_mfma_scale_f32_16x16x128_f8f6f4 a[12:15], v[124:127], v[60:63], a[12:15], v175, v171 op_sel_hi:[0,0,0] cbsz:4 blgp:4// 000000004748: D3AC7800 000357AF D3AD8C0C 8432797C
	s_add_u32 s62, 0x300, s60                                  // 000000004758: 803E3CFF 00000300
	s_cmp_lt_u32 s62, s61                                      // 000000004760: BF0A3D3E
	v_mfma_scale_f32_16x16x128_f8f6f4 a[0:3], v[128:131], v[64:67], a[0:3], v175, v171 op_sel_hi:[0,0,0] cbsz:4 blgp:4// 000000004764: D3AC6000 180357AF D3AD8C00 84028180
	s_cselect_b32 s66, s66, 0                                  // 000000004774: 85428042
	buffer_load_dwordx4 v[72:75], v185, s[16:19], 0 offen      // 000000004778: E05C1000 800448B9
	v_mfma_scale_f32_16x16x128_f8f6f4 a[4:7], v[128:131], v[68:71], a[4:7], v175, v171 op_sel_hi:[0,0,0] cbsz:4 blgp:4// 000000004780: D3AC7000 180357AF D3AD8C04 84128980
	s_cselect_b32 s68, s68, 0                                  // 000000004790: 85448044
	s_add_u32 s12, s12, s66                                    // 000000004794: 800C420C
	v_mfma_scale_f32_16x16x128_f8f6f4 a[8:11], v[132:135], v[64:67], a[8:11], v175, v171 op_sel_hi:[0,0,0] cbsz:4 blgp:4// 000000004798: D3AC6800 180357AF D3AD8C08 84228184
	s_addc_u32 s13, 0, s13                                     // 0000000047A8: 820D0D80
	buffer_load_dwordx4 v[76:79], v186, s[16:19], 0 offen      // 0000000047AC: E05C1000 80044CBA
	v_mfma_scale_f32_16x16x128_f8f6f4 a[12:15], v[132:135], v[68:71], a[12:15], v175, v171 op_sel_hi:[0,0,0] cbsz:4 blgp:4// 0000000047B4: D3AC7800 180357AF D3AD8C0C 84328984
	s_sub_u32 s14, s14, s66                                    // 0000000047C4: 808E420E
	s_add_u32 s20, s20, s68                                    // 0000000047C8: 80144414
	s_addc_u32 s21, 0, s21                                     // 0000000047CC: 82151580
	buffer_load_dwordx4 v[80:83], v185, s[16:19], 0 offen offset:1024// 0000000047D0: E05C1400 800450B9
	s_sub_u32 s22, s22, s68                                    // 0000000047D8: 80964416
	buffer_load_dwordx4 v[84:87], v186, s[16:19], 0 offen offset:1024// 0000000047DC: E05C1400 800454BA
	buffer_load_dword v172, v191, s[24:27], 0 offen            // 0000000047E4: E0501000 8006ACBF
	s_waitcnt vmcnt(12)                                        // 0000000047EC: BF8C0F7C
	v_mfma_scale_f32_16x16x128_f8f6f4 a[16:19], v[136:139], v[56:59], a[16:19], v176, v171 op_sel_hi:[0,0,0] cbsz:4 blgp:4// 0000000047F0: D3AC6000 000357B0 D3AD8C10 84427188
	buffer_load_dwordx4 v[88:91], v187, s[16:19], 0 offen      // 000000004800: E05C1000 800458BB
	v_mfma_scale_f32_16x16x128_f8f6f4 a[20:23], v[136:139], v[60:63], a[20:23], v176, v171 op_sel_hi:[0,0,0] cbsz:4 blgp:4// 000000004808: D3AC7000 000357B0 D3AD8C14 84527988
	v_mfma_scale_f32_16x16x128_f8f6f4 a[24:27], v[140:143], v[56:59], a[24:27], v176, v171 op_sel_hi:[0,0,0] cbsz:4 blgp:4// 000000004818: D3AC6800 000357B0 D3AD8C18 8462718C
	buffer_load_dwordx4 v[92:95], v188, s[16:19], 0 offen      // 000000004828: E05C1000 80045CBC
	v_mfma_scale_f32_16x16x128_f8f6f4 a[28:31], v[140:143], v[60:63], a[28:31], v176, v171 op_sel_hi:[0,0,0] cbsz:4 blgp:4// 000000004830: D3AC7800 000357B0 D3AD8C1C 8472798C
	v_mfma_scale_f32_16x16x128_f8f6f4 a[16:19], v[144:147], v[64:67], a[16:19], v176, v171 op_sel_hi:[0,0,0] cbsz:4 blgp:4// 000000004840: D3AC6000 180357B0 D3AD8C10 84428190
	buffer_load_dwordx4 v[96:99], v187, s[16:19], 0 offen offset:1024// 000000004850: E05C1400 800460BB
	v_mfma_scale_f32_16x16x128_f8f6f4 a[20:23], v[144:147], v[68:71], a[20:23], v176, v171 op_sel_hi:[0,0,0] cbsz:4 blgp:4// 000000004858: D3AC7000 180357B0 D3AD8C14 84528990
	v_mfma_scale_f32_16x16x128_f8f6f4 a[24:27], v[148:151], v[64:67], a[24:27], v176, v171 op_sel_hi:[0,0,0] cbsz:4 blgp:4// 000000004868: D3AC6800 180357B0 D3AD8C18 84628194
	buffer_load_dwordx4 v[100:103], v188, s[16:19], 0 offen offset:1024// 000000004878: E05C1400 800464BC
	v_mfma_scale_f32_16x16x128_f8f6f4 a[28:31], v[148:151], v[68:71], a[28:31], v176, v171 op_sel_hi:[0,0,0] cbsz:4 blgp:4// 000000004880: D3AC7800 180357B0 D3AD8C1C 84728994
	buffer_load_dword v173, v192, s[24:27], 0 offen            // 000000004890: E0501000 8006ADC0
	s_waitcnt vmcnt(10)                                        // 000000004898: BF8C0F7A
	s_barrier                                                  // 00000000489C: BF8A0000
	v_mfma_scale_f32_16x16x128_f8f6f4 a[32:35], v[152:155], v[56:59], a[32:35], v177, v171 op_sel_hi:[0,0,0] cbsz:4 blgp:4// 0000000048A0: D3AC6000 000357B1 D3AD8C20 84827198
	s_add_u32 s63, 0x200, s60                                  // 0000000048B0: 803F3CFF 00000200
	buffer_load_dwordx4 v[104:107], v189, s[16:19], 0 offen    // 0000000048B8: E05C1000 800468BD
	v_mfma_scale_f32_16x16x128_f8f6f4 a[36:39], v[152:155], v[60:63], a[36:39], v177, v171 op_sel_hi:[0,0,0] cbsz:4 blgp:4// 0000000048C0: D3AC7000 000357B1 D3AD8C24 84927998
	s_cmp_lt_u32 s63, s61                                      // 0000000048D0: BF0A3D3F
	ds_read_b128 v[24:27], v180                                // 0000000048D4: D9FE0000 180000B4
	v_mfma_scale_f32_16x16x128_f8f6f4 a[40:43], v[156:159], v[56:59], a[40:43], v177, v171 op_sel_hi:[0,0,0] cbsz:4 blgp:4// 0000000048DC: D3AC6800 000357B1 D3AD8C28 84A2719C
	s_cselect_b32 s67, s67, 0                                  // 0000000048EC: 85438043
	buffer_load_dwordx4 v[108:111], v190, s[16:19], 0 offen    // 0000000048F0: E05C1000 80046CBE
	v_mfma_scale_f32_16x16x128_f8f6f4 a[44:47], v[156:159], v[60:63], a[44:47], v177, v171 op_sel_hi:[0,0,0] cbsz:4 blgp:4// 0000000048F8: D3AC7800 000357B1 D3AD8C2C 84B2799C
	s_cselect_b32 s69, s69, 0                                  // 000000004908: 85458045
	ds_read_b128 v[32:35], v180 offset:64                      // 00000000490C: D9FE0040 200000B4
	v_mfma_scale_f32_16x16x128_f8f6f4 a[32:35], v[160:163], v[64:67], a[32:35], v177, v171 op_sel_hi:[0,0,0] cbsz:4 blgp:4// 000000004914: D3AC6000 180357B1 D3AD8C20 848281A0
	buffer_load_dwordx4 v[112:115], v189, s[16:19], 0 offen offset:1024// 000000004924: E05C1400 800470BD
	v_mfma_scale_f32_16x16x128_f8f6f4 a[36:39], v[160:163], v[68:71], a[36:39], v177, v171 op_sel_hi:[0,0,0] cbsz:4 blgp:4// 00000000492C: D3AC7000 180357B1 D3AD8C24 849289A0
	ds_read_b128 v[28:31], v180 offset:512                     // 00000000493C: D9FE0200 1C0000B4
	v_mfma_scale_f32_16x16x128_f8f6f4 a[40:43], v[164:167], v[64:67], a[40:43], v177, v171 op_sel_hi:[0,0,0] cbsz:4 blgp:4// 000000004944: D3AC6800 180357B1 D3AD8C28 84A281A4
	buffer_load_dwordx4 v[116:119], v190, s[16:19], 0 offen offset:1024// 000000004954: E05C1400 800474BE
	v_mfma_scale_f32_16x16x128_f8f6f4 a[44:47], v[164:167], v[68:71], a[44:47], v177, v171 op_sel_hi:[0,0,0] cbsz:4 blgp:4// 00000000495C: D3AC7800 180357B1 D3AD8C2C 84B289A4
	ds_read_b128 v[36:39], v180 offset:576                     // 00000000496C: D9FE0240 240000B4
	ds_read_b32 v169, v184 offset:1024                         // 000000004974: D86C0400 A90000B8
	buffer_load_dword v174, v193, s[24:27], 0 offen            // 00000000497C: E0501000 8006AEC1
	s_add_u32 s16, s16, s67                                    // 000000004984: 80104310
	s_addc_u32 s17, 0, s17                                     // 000000004988: 82111180
	s_sub_u32 s18, s18, s67                                    // 00000000498C: 80924312
	s_add_u32 s24, s24, s69                                    // 000000004990: 80184518
	s_addc_u32 s25, 0, s25                                     // 000000004994: 82191980
	s_sub_u32 s26, s26, s69                                    // 000000004998: 809A451A
	s_addk_i32 s60, 0x100                                      // 00000000499C: B73C0100
	s_cmp_lt_i32 s60, s61                                      // 0000000049A0: BF043D3C
	s_cbranch_scc0 label_076B                                  // 0000000049A4: BF840001
	s_branch label_04B8                                        // 0000000049A8: BF82FD4D

00000000000049ac <label_076B>:
	s_waitcnt lgkmcnt(0)                                       // 0000000049AC: BF8CC07F
	s_mul_i32 s62, s47, 0x180                                  // 0000000049B0: 923EFF2F 00000180
	s_mul_i32 s63, s46, 0x60                                   // 0000000049B8: 923FFF2E 00000060
	s_add_u32 s60, s62, s63                                    // 0000000049C0: 803C3F3E
	s_add_u32 s62, s60, 0x60                                   // 0000000049C4: 803EFF3C 00000060
	s_cmp_lt_i32 s44, s62                                      // 0000000049CC: BF043E2C
	s_cbranch_scc1 label_083B                                  // 0000000049D0: BF8500C6
	s_mul_i32 s62, s36, 16                                     // 0000000049D4: 923E9024
	v_add_u32_e32 v198, 0, v194                                // 0000000049D8: 698D8480
	v_accvgpr_read_b32 v8, a0                                  // 0000000049DC: D3D84008 18000100
	v_accvgpr_read_b32 v9, a1                                  // 0000000049E4: D3D84009 18000101
	v_accvgpr_read_b32 v10, a2                                 // 0000000049EC: D3D8400A 18000102
	v_accvgpr_read_b32 v11, a3                                 // 0000000049F4: D3D8400B 18000103
	v_accvgpr_read_b32 v12, a8                                 // 0000000049FC: D3D8400C 18000108
	v_accvgpr_read_b32 v13, a9                                 // 000000004A04: D3D8400D 18000109
	v_accvgpr_read_b32 v14, a10                                // 000000004A0C: D3D8400E 1800010A
	v_accvgpr_read_b32 v15, a11                                // 000000004A14: D3D8400F 1800010B
	v_cvt_pk_bf16_f32 v16, v8, v9                              // 000000004A1C: D2680010 00021308
	v_cvt_pk_bf16_f32 v17, v10, v11                            // 000000004A24: D2680011 0002170A
	v_cvt_pk_bf16_f32 v18, v12, v13                            // 000000004A2C: D2680012 00021B0C
	v_cvt_pk_bf16_f32 v19, v14, v15                            // 000000004A34: D2680013 00021F0E
	s_nop 1                                                    // 000000004A3C: BF800001
	v_permlane16_swap_b32_e32 v16, v18                         // 000000004A40: 7E20B312
	s_nop 1                                                    // 000000004A44: BF800001
	v_permlane16_swap_b32_e32 v17, v19                         // 000000004A48: 7E22B313
	s_nop 1                                                    // 000000004A4C: BF800001
	buffer_store_dwordx4 v[16:19], v198, s[4:7], 0 offen       // 000000004A50: E07C1000 800110C6
	v_add_u32_e32 v198, s62, v198                              // 000000004A58: 698D8C3E
	v_accvgpr_read_b32 v8, a4                                  // 000000004A5C: D3D84008 18000104
	v_accvgpr_read_b32 v9, a5                                  // 000000004A64: D3D84009 18000105
	v_accvgpr_read_b32 v10, a6                                 // 000000004A6C: D3D8400A 18000106
	v_accvgpr_read_b32 v11, a7                                 // 000000004A74: D3D8400B 18000107
	v_accvgpr_read_b32 v12, a12                                // 000000004A7C: D3D8400C 1800010C
	v_accvgpr_read_b32 v13, a13                                // 000000004A84: D3D8400D 1800010D
	v_accvgpr_read_b32 v14, a14                                // 000000004A8C: D3D8400E 1800010E
	v_accvgpr_read_b32 v15, a15                                // 000000004A94: D3D8400F 1800010F
	v_cvt_pk_bf16_f32 v16, v8, v9                              // 000000004A9C: D2680010 00021308
	v_cvt_pk_bf16_f32 v17, v10, v11                            // 000000004AA4: D2680011 0002170A
	v_cvt_pk_bf16_f32 v18, v12, v13                            // 000000004AAC: D2680012 00021B0C
	v_cvt_pk_bf16_f32 v19, v14, v15                            // 000000004AB4: D2680013 00021F0E
	s_nop 1                                                    // 000000004ABC: BF800001
	v_permlane16_swap_b32_e32 v16, v18                         // 000000004AC0: 7E20B312
	s_nop 1                                                    // 000000004AC4: BF800001
	v_permlane16_swap_b32_e32 v17, v19                         // 000000004AC8: 7E22B313
	s_nop 1                                                    // 000000004ACC: BF800001
	buffer_store_dwordx4 v[16:19], v198, s[4:7], 0 offen       // 000000004AD0: E07C1000 800110C6
	v_add_u32_e32 v198, s62, v198                              // 000000004AD8: 698D8C3E
	v_add_u32_e32 v198, 64, v194                               // 000000004ADC: 698D84C0
	v_accvgpr_read_b32 v8, a16                                 // 000000004AE0: D3D84008 18000110
	v_accvgpr_read_b32 v9, a17                                 // 000000004AE8: D3D84009 18000111
	v_accvgpr_read_b32 v10, a18                                // 000000004AF0: D3D8400A 18000112
	v_accvgpr_read_b32 v11, a19                                // 000000004AF8: D3D8400B 18000113
	v_accvgpr_read_b32 v12, a24                                // 000000004B00: D3D8400C 18000118
	v_accvgpr_read_b32 v13, a25                                // 000000004B08: D3D8400D 18000119
	v_accvgpr_read_b32 v14, a26                                // 000000004B10: D3D8400E 1800011A
	v_accvgpr_read_b32 v15, a27                                // 000000004B18: D3D8400F 1800011B
	v_cvt_pk_bf16_f32 v16, v8, v9                              // 000000004B20: D2680010 00021308
	v_cvt_pk_bf16_f32 v17, v10, v11                            // 000000004B28: D2680011 0002170A
	v_cvt_pk_bf16_f32 v18, v12, v13                            // 000000004B30: D2680012 00021B0C
	v_cvt_pk_bf16_f32 v19, v14, v15                            // 000000004B38: D2680013 00021F0E
	s_nop 1                                                    // 000000004B40: BF800001
	v_permlane16_swap_b32_e32 v16, v18                         // 000000004B44: 7E20B312
	s_nop 1                                                    // 000000004B48: BF800001
	v_permlane16_swap_b32_e32 v17, v19                         // 000000004B4C: 7E22B313
	s_nop 1                                                    // 000000004B50: BF800001
	buffer_store_dwordx4 v[16:19], v198, s[4:7], 0 offen       // 000000004B54: E07C1000 800110C6
	v_add_u32_e32 v198, s62, v198                              // 000000004B5C: 698D8C3E
	v_accvgpr_read_b32 v8, a20                                 // 000000004B60: D3D84008 18000114
	v_accvgpr_read_b32 v9, a21                                 // 000000004B68: D3D84009 18000115
	v_accvgpr_read_b32 v10, a22                                // 000000004B70: D3D8400A 18000116
	v_accvgpr_read_b32 v11, a23                                // 000000004B78: D3D8400B 18000117
	v_accvgpr_read_b32 v12, a28                                // 000000004B80: D3D8400C 1800011C
	v_accvgpr_read_b32 v13, a29                                // 000000004B88: D3D8400D 1800011D
	v_accvgpr_read_b32 v14, a30                                // 000000004B90: D3D8400E 1800011E
	v_accvgpr_read_b32 v15, a31                                // 000000004B98: D3D8400F 1800011F
	v_cvt_pk_bf16_f32 v16, v8, v9                              // 000000004BA0: D2680010 00021308
	v_cvt_pk_bf16_f32 v17, v10, v11                            // 000000004BA8: D2680011 0002170A
	v_cvt_pk_bf16_f32 v18, v12, v13                            // 000000004BB0: D2680012 00021B0C
	v_cvt_pk_bf16_f32 v19, v14, v15                            // 000000004BB8: D2680013 00021F0E
	s_nop 1                                                    // 000000004BC0: BF800001
	v_permlane16_swap_b32_e32 v16, v18                         // 000000004BC4: 7E20B312
	s_nop 1                                                    // 000000004BC8: BF800001
	v_permlane16_swap_b32_e32 v17, v19                         // 000000004BCC: 7E22B313
	s_nop 1                                                    // 000000004BD0: BF800001
	buffer_store_dwordx4 v[16:19], v198, s[4:7], 0 offen       // 000000004BD4: E07C1000 800110C6
	v_add_u32_e32 v198, s62, v198                              // 000000004BDC: 698D8C3E
	v_add_u32_e32 v198, 0x80, v194                             // 000000004BE0: 698D84FF 00000080
	v_accvgpr_read_b32 v8, a32                                 // 000000004BE8: D3D84008 18000120
	v_accvgpr_read_b32 v9, a33                                 // 000000004BF0: D3D84009 18000121
	v_accvgpr_read_b32 v10, a34                                // 000000004BF8: D3D8400A 18000122
	v_accvgpr_read_b32 v11, a35                                // 000000004C00: D3D8400B 18000123
	v_accvgpr_read_b32 v12, a40                                // 000000004C08: D3D8400C 18000128
	v_accvgpr_read_b32 v13, a41                                // 000000004C10: D3D8400D 18000129
	v_accvgpr_read_b32 v14, a42                                // 000000004C18: D3D8400E 1800012A
	v_accvgpr_read_b32 v15, a43                                // 000000004C20: D3D8400F 1800012B
	v_cvt_pk_bf16_f32 v16, v8, v9                              // 000000004C28: D2680010 00021308
	v_cvt_pk_bf16_f32 v17, v10, v11                            // 000000004C30: D2680011 0002170A
	v_cvt_pk_bf16_f32 v18, v12, v13                            // 000000004C38: D2680012 00021B0C
	v_cvt_pk_bf16_f32 v19, v14, v15                            // 000000004C40: D2680013 00021F0E
	s_nop 1                                                    // 000000004C48: BF800001
	v_permlane16_swap_b32_e32 v16, v18                         // 000000004C4C: 7E20B312
	s_nop 1                                                    // 000000004C50: BF800001
	v_permlane16_swap_b32_e32 v17, v19                         // 000000004C54: 7E22B313
	s_nop 1                                                    // 000000004C58: BF800001
	buffer_store_dwordx4 v[16:19], v198, s[4:7], 0 offen       // 000000004C5C: E07C1000 800110C6
	v_add_u32_e32 v198, s62, v198                              // 000000004C64: 698D8C3E
	v_accvgpr_read_b32 v8, a36                                 // 000000004C68: D3D84008 18000124
	v_accvgpr_read_b32 v9, a37                                 // 000000004C70: D3D84009 18000125
	v_accvgpr_read_b32 v10, a38                                // 000000004C78: D3D8400A 18000126
	v_accvgpr_read_b32 v11, a39                                // 000000004C80: D3D8400B 18000127
	v_accvgpr_read_b32 v12, a44                                // 000000004C88: D3D8400C 1800012C
	v_accvgpr_read_b32 v13, a45                                // 000000004C90: D3D8400D 1800012D
	v_accvgpr_read_b32 v14, a46                                // 000000004C98: D3D8400E 1800012E
	v_accvgpr_read_b32 v15, a47                                // 000000004CA0: D3D8400F 1800012F
	v_cvt_pk_bf16_f32 v16, v8, v9                              // 000000004CA8: D2680010 00021308
	v_cvt_pk_bf16_f32 v17, v10, v11                            // 000000004CB0: D2680011 0002170A
	v_cvt_pk_bf16_f32 v18, v12, v13                            // 000000004CB8: D2680012 00021B0C
	v_cvt_pk_bf16_f32 v19, v14, v15                            // 000000004CC0: D2680013 00021F0E
	s_nop 1                                                    // 000000004CC8: BF800001
	v_permlane16_swap_b32_e32 v16, v18                         // 000000004CCC: 7E20B312
	s_nop 1                                                    // 000000004CD0: BF800001
	v_permlane16_swap_b32_e32 v17, v19                         // 000000004CD4: 7E22B313
	s_nop 1                                                    // 000000004CD8: BF800001
	buffer_store_dwordx4 v[16:19], v198, s[4:7], 0 offen       // 000000004CDC: E07C1000 800110C6
	v_add_u32_e32 v198, s62, v198                              // 000000004CE4: 698D8C3E
	s_branch label_0909                                        // 000000004CE8: BF8200CE

0000000000004cec <label_083B>:
	s_mul_i32 s62, s36, 16                                     // 000000004CEC: 923E9024
	s_cmp_lt_i32 s60, s44                                      // 000000004CF0: BF042C3C
	s_cbranch_scc0 label_0909                                  // 000000004CF4: BF8400CB
	s_addk_i32 s60, 0x20                                       // 000000004CF8: B73C0020
	v_add_u32_e32 v198, 0, v194                                // 000000004CFC: 698D8480
	v_accvgpr_read_b32 v8, a0                                  // 000000004D00: D3D84008 18000100
	v_accvgpr_read_b32 v9, a1                                  // 000000004D08: D3D84009 18000101
	v_accvgpr_read_b32 v10, a2                                 // 000000004D10: D3D8400A 18000102
	v_accvgpr_read_b32 v11, a3                                 // 000000004D18: D3D8400B 18000103
	v_accvgpr_read_b32 v12, a8                                 // 000000004D20: D3D8400C 18000108
	v_accvgpr_read_b32 v13, a9                                 // 000000004D28: D3D8400D 18000109
	v_accvgpr_read_b32 v14, a10                                // 000000004D30: D3D8400E 1800010A
	v_accvgpr_read_b32 v15, a11                                // 000000004D38: D3D8400F 1800010B
	v_cvt_pk_bf16_f32 v16, v8, v9                              // 000000004D40: D2680010 00021308
	v_cvt_pk_bf16_f32 v17, v10, v11                            // 000000004D48: D2680011 0002170A
	v_cvt_pk_bf16_f32 v18, v12, v13                            // 000000004D50: D2680012 00021B0C
	v_cvt_pk_bf16_f32 v19, v14, v15                            // 000000004D58: D2680013 00021F0E
	s_nop 1                                                    // 000000004D60: BF800001
	v_permlane16_swap_b32_e32 v16, v18                         // 000000004D64: 7E20B312
	s_nop 1                                                    // 000000004D68: BF800001
	v_permlane16_swap_b32_e32 v17, v19                         // 000000004D6C: 7E22B313
	s_nop 1                                                    // 000000004D70: BF800001
	buffer_store_dwordx4 v[16:19], v198, s[4:7], 0 offen       // 000000004D74: E07C1000 800110C6
	v_add_u32_e32 v198, s62, v198                              // 000000004D7C: 698D8C3E
	v_accvgpr_read_b32 v8, a4                                  // 000000004D80: D3D84008 18000104
	v_accvgpr_read_b32 v9, a5                                  // 000000004D88: D3D84009 18000105
	v_accvgpr_read_b32 v10, a6                                 // 000000004D90: D3D8400A 18000106
	v_accvgpr_read_b32 v11, a7                                 // 000000004D98: D3D8400B 18000107
	v_accvgpr_read_b32 v12, a12                                // 000000004DA0: D3D8400C 1800010C
	v_accvgpr_read_b32 v13, a13                                // 000000004DA8: D3D8400D 1800010D
	v_accvgpr_read_b32 v14, a14                                // 000000004DB0: D3D8400E 1800010E
	v_accvgpr_read_b32 v15, a15                                // 000000004DB8: D3D8400F 1800010F
	v_cvt_pk_bf16_f32 v16, v8, v9                              // 000000004DC0: D2680010 00021308
	v_cvt_pk_bf16_f32 v17, v10, v11                            // 000000004DC8: D2680011 0002170A
	v_cvt_pk_bf16_f32 v18, v12, v13                            // 000000004DD0: D2680012 00021B0C
	v_cvt_pk_bf16_f32 v19, v14, v15                            // 000000004DD8: D2680013 00021F0E
	s_nop 1                                                    // 000000004DE0: BF800001
	v_permlane16_swap_b32_e32 v16, v18                         // 000000004DE4: 7E20B312
	s_nop 1                                                    // 000000004DE8: BF800001
	v_permlane16_swap_b32_e32 v17, v19                         // 000000004DEC: 7E22B313
	s_nop 1                                                    // 000000004DF0: BF800001
	buffer_store_dwordx4 v[16:19], v198, s[4:7], 0 offen       // 000000004DF4: E07C1000 800110C6
	v_add_u32_e32 v198, s62, v198                              // 000000004DFC: 698D8C3E
	s_cmp_lt_i32 s60, s44                                      // 000000004E00: BF042C3C
	s_cbranch_scc0 label_0909                                  // 000000004E04: BF840087
	s_addk_i32 s60, 0x20                                       // 000000004E08: B73C0020
	v_add_u32_e32 v198, 64, v194                               // 000000004E0C: 698D84C0
	v_accvgpr_read_b32 v8, a16                                 // 000000004E10: D3D84008 18000110
	v_accvgpr_read_b32 v9, a17                                 // 000000004E18: D3D84009 18000111
	v_accvgpr_read_b32 v10, a18                                // 000000004E20: D3D8400A 18000112
	v_accvgpr_read_b32 v11, a19                                // 000000004E28: D3D8400B 18000113
	v_accvgpr_read_b32 v12, a24                                // 000000004E30: D3D8400C 18000118
	v_accvgpr_read_b32 v13, a25                                // 000000004E38: D3D8400D 18000119
	v_accvgpr_read_b32 v14, a26                                // 000000004E40: D3D8400E 1800011A
	v_accvgpr_read_b32 v15, a27                                // 000000004E48: D3D8400F 1800011B
	v_cvt_pk_bf16_f32 v16, v8, v9                              // 000000004E50: D2680010 00021308
	v_cvt_pk_bf16_f32 v17, v10, v11                            // 000000004E58: D2680011 0002170A
	v_cvt_pk_bf16_f32 v18, v12, v13                            // 000000004E60: D2680012 00021B0C
	v_cvt_pk_bf16_f32 v19, v14, v15                            // 000000004E68: D2680013 00021F0E
	s_nop 1                                                    // 000000004E70: BF800001
	v_permlane16_swap_b32_e32 v16, v18                         // 000000004E74: 7E20B312
	s_nop 1                                                    // 000000004E78: BF800001
	v_permlane16_swap_b32_e32 v17, v19                         // 000000004E7C: 7E22B313
	s_nop 1                                                    // 000000004E80: BF800001
	buffer_store_dwordx4 v[16:19], v198, s[4:7], 0 offen       // 000000004E84: E07C1000 800110C6
	v_add_u32_e32 v198, s62, v198                              // 000000004E8C: 698D8C3E
	v_accvgpr_read_b32 v8, a20                                 // 000000004E90: D3D84008 18000114
	v_accvgpr_read_b32 v9, a21                                 // 000000004E98: D3D84009 18000115
	v_accvgpr_read_b32 v10, a22                                // 000000004EA0: D3D8400A 18000116
	v_accvgpr_read_b32 v11, a23                                // 000000004EA8: D3D8400B 18000117
	v_accvgpr_read_b32 v12, a28                                // 000000004EB0: D3D8400C 1800011C
	v_accvgpr_read_b32 v13, a29                                // 000000004EB8: D3D8400D 1800011D
	v_accvgpr_read_b32 v14, a30                                // 000000004EC0: D3D8400E 1800011E
	v_accvgpr_read_b32 v15, a31                                // 000000004EC8: D3D8400F 1800011F
	v_cvt_pk_bf16_f32 v16, v8, v9                              // 000000004ED0: D2680010 00021308
	v_cvt_pk_bf16_f32 v17, v10, v11                            // 000000004ED8: D2680011 0002170A
	v_cvt_pk_bf16_f32 v18, v12, v13                            // 000000004EE0: D2680012 00021B0C
	v_cvt_pk_bf16_f32 v19, v14, v15                            // 000000004EE8: D2680013 00021F0E
	s_nop 1                                                    // 000000004EF0: BF800001
	v_permlane16_swap_b32_e32 v16, v18                         // 000000004EF4: 7E20B312
	s_nop 1                                                    // 000000004EF8: BF800001
	v_permlane16_swap_b32_e32 v17, v19                         // 000000004EFC: 7E22B313
	s_nop 1                                                    // 000000004F00: BF800001
	buffer_store_dwordx4 v[16:19], v198, s[4:7], 0 offen       // 000000004F04: E07C1000 800110C6
	v_add_u32_e32 v198, s62, v198                              // 000000004F0C: 698D8C3E
	s_cmp_lt_i32 s60, s44                                      // 000000004F10: BF042C3C
	s_cbranch_scc0 label_0909                                  // 000000004F14: BF840043
	s_addk_i32 s60, 0x20                                       // 000000004F18: B73C0020
	v_add_u32_e32 v198, 0x80, v194                             // 000000004F1C: 698D84FF 00000080
	v_accvgpr_read_b32 v8, a32                                 // 000000004F24: D3D84008 18000120
	v_accvgpr_read_b32 v9, a33                                 // 000000004F2C: D3D84009 18000121
	v_accvgpr_read_b32 v10, a34                                // 000000004F34: D3D8400A 18000122
	v_accvgpr_read_b32 v11, a35                                // 000000004F3C: D3D8400B 18000123
	v_accvgpr_read_b32 v12, a40                                // 000000004F44: D3D8400C 18000128
	v_accvgpr_read_b32 v13, a41                                // 000000004F4C: D3D8400D 18000129
	v_accvgpr_read_b32 v14, a42                                // 000000004F54: D3D8400E 1800012A
	v_accvgpr_read_b32 v15, a43                                // 000000004F5C: D3D8400F 1800012B
	v_cvt_pk_bf16_f32 v16, v8, v9                              // 000000004F64: D2680010 00021308
	v_cvt_pk_bf16_f32 v17, v10, v11                            // 000000004F6C: D2680011 0002170A
	v_cvt_pk_bf16_f32 v18, v12, v13                            // 000000004F74: D2680012 00021B0C
	v_cvt_pk_bf16_f32 v19, v14, v15                            // 000000004F7C: D2680013 00021F0E
	s_nop 1                                                    // 000000004F84: BF800001
	v_permlane16_swap_b32_e32 v16, v18                         // 000000004F88: 7E20B312
	s_nop 1                                                    // 000000004F8C: BF800001
	v_permlane16_swap_b32_e32 v17, v19                         // 000000004F90: 7E22B313
	s_nop 1                                                    // 000000004F94: BF800001
	buffer_store_dwordx4 v[16:19], v198, s[4:7], 0 offen       // 000000004F98: E07C1000 800110C6
	v_add_u32_e32 v198, s62, v198                              // 000000004FA0: 698D8C3E
	v_accvgpr_read_b32 v8, a36                                 // 000000004FA4: D3D84008 18000124
	v_accvgpr_read_b32 v9, a37                                 // 000000004FAC: D3D84009 18000125
	v_accvgpr_read_b32 v10, a38                                // 000000004FB4: D3D8400A 18000126
	v_accvgpr_read_b32 v11, a39                                // 000000004FBC: D3D8400B 18000127
	v_accvgpr_read_b32 v12, a44                                // 000000004FC4: D3D8400C 1800012C
	v_accvgpr_read_b32 v13, a45                                // 000000004FCC: D3D8400D 1800012D
	v_accvgpr_read_b32 v14, a46                                // 000000004FD4: D3D8400E 1800012E
	v_accvgpr_read_b32 v15, a47                                // 000000004FDC: D3D8400F 1800012F
	v_cvt_pk_bf16_f32 v16, v8, v9                              // 000000004FE4: D2680010 00021308
	v_cvt_pk_bf16_f32 v17, v10, v11                            // 000000004FEC: D2680011 0002170A
	v_cvt_pk_bf16_f32 v18, v12, v13                            // 000000004FF4: D2680012 00021B0C
	v_cvt_pk_bf16_f32 v19, v14, v15                            // 000000004FFC: D2680013 00021F0E
	s_nop 1                                                    // 000000005004: BF800001
	v_permlane16_swap_b32_e32 v16, v18                         // 000000005008: 7E20B312
	s_nop 1                                                    // 00000000500C: BF800001
	v_permlane16_swap_b32_e32 v17, v19                         // 000000005010: 7E22B313
	s_nop 1                                                    // 000000005014: BF800001
	buffer_store_dwordx4 v[16:19], v198, s[4:7], 0 offen       // 000000005018: E07C1000 800110C6
	v_add_u32_e32 v198, s62, v198                              // 000000005020: 698D8C3E

0000000000005024 <label_0909>:
	s_waitcnt vmcnt(0) expcnt(0) lgkmcnt(0)                    // 000000005024: BF8C0000
	s_endpgm                                                   // 000000005028: BF810000
